;; amdgpu-corpus repo=ROCm/rocFFT kind=compiled arch=gfx1030 opt=O3
	.text
	.amdgcn_target "amdgcn-amd-amdhsa--gfx1030"
	.amdhsa_code_object_version 6
	.protected	bluestein_single_fwd_len1360_dim1_sp_op_CI_CI ; -- Begin function bluestein_single_fwd_len1360_dim1_sp_op_CI_CI
	.globl	bluestein_single_fwd_len1360_dim1_sp_op_CI_CI
	.p2align	8
	.type	bluestein_single_fwd_len1360_dim1_sp_op_CI_CI,@function
bluestein_single_fwd_len1360_dim1_sp_op_CI_CI: ; @bluestein_single_fwd_len1360_dim1_sp_op_CI_CI
; %bb.0:
	s_mov_b64 s[18:19], s[2:3]
	s_mov_b64 s[16:17], s[0:1]
	s_load_dwordx4 s[0:3], s[4:5], 0x28
	v_mul_u32_u24_e32 v1, 0x304, v0
	s_add_u32 s16, s16, s7
	s_addc_u32 s17, s17, 0
	v_lshrrev_b32_e32 v1, 16, v1
	v_mad_u64_u32 v[92:93], null, s6, 3, v[1:2]
	v_mov_b32_e32 v93, 0
                                        ; kill: def $vgpr2 killed $sgpr0 killed $exec
	s_waitcnt lgkmcnt(0)
	v_cmp_gt_u64_e32 vcc_lo, s[0:1], v[92:93]
	s_and_saveexec_b32 s0, vcc_lo
	s_cbranch_execz .LBB0_23
; %bb.1:
	v_mul_hi_u32 v2, 0xaaaaaaab, v92
	v_mul_lo_u16 v1, 0x55, v1
	s_clause 0x1
	s_load_dwordx2 s[12:13], s[4:5], 0x0
	s_load_dwordx2 s[14:15], s[4:5], 0x38
	v_sub_nc_u16 v0, v0, v1
	v_lshrrev_b32_e32 v2, 1, v2
	v_and_b32_e32 v110, 0xffff, v0
	v_cmp_gt_u16_e32 vcc_lo, 0x50, v0
	v_lshl_add_u32 v2, v2, 1, v2
	v_lshlrev_b32_e32 v109, 3, v110
	v_or_b32_e32 v108, 0x280, v110
	v_sub_nc_u32_e32 v1, v92, v2
	v_or_b32_e32 v107, 0x500, v110
	v_mul_u32_u24_e32 v72, 0x550, v1
	v_lshlrev_b32_e32 v111, 3, v72
	s_and_saveexec_b32 s1, vcc_lo
	s_cbranch_execz .LBB0_3
; %bb.2:
	s_load_dwordx2 s[6:7], s[4:5], 0x18
	v_lshlrev_b32_e32 v16, 3, v108
	v_lshlrev_b32_e32 v20, 3, v107
	s_waitcnt lgkmcnt(0)
	v_add_co_u32 v42, s0, s12, v109
	v_add_co_ci_u32_e64 v43, null, s13, 0, s0
	v_add_co_u32 v12, s0, 0x800, v42
	v_add_co_ci_u32_e64 v13, s0, 0, v43, s0
	v_add_co_u32 v14, s0, 0x1000, v42
	v_add_co_ci_u32_e64 v15, s0, 0, v43, s0
	s_load_dwordx4 s[8:11], s[6:7], 0x0
	s_clause 0x4
	global_load_dwordx2 v[0:1], v109, s[12:13]
	global_load_dwordx2 v[2:3], v109, s[12:13] offset:640
	global_load_dwordx2 v[4:5], v109, s[12:13] offset:1280
	;; [unrolled: 1-line block ×3, first 2 shown]
	global_load_dwordx2 v[16:17], v16, s[12:13]
	s_waitcnt lgkmcnt(0)
	v_mad_u64_u32 v[8:9], null, s10, v92, 0
	v_mad_u64_u32 v[10:11], null, s8, v110, 0
	v_mad_u64_u32 v[24:25], null, s8, v107, 0
	s_mul_i32 s0, s9, 0x280
	s_mul_hi_u32 s6, s8, 0x280
	s_mul_i32 s7, s8, 0x280
	s_add_i32 s6, s6, s0
	v_mad_u64_u32 v[18:19], null, s11, v92, v[9:10]
	global_load_dwordx2 v[19:20], v20, s[12:13]
	v_mad_u64_u32 v[21:22], null, s9, v110, v[11:12]
	v_mad_u64_u32 v[22:23], null, s8, v108, 0
	v_mov_b32_e32 v9, v18
	v_mov_b32_e32 v11, v21
	;; [unrolled: 1-line block ×3, first 2 shown]
	v_lshlrev_b64 v[8:9], 3, v[8:9]
	v_mov_b32_e32 v18, v23
	v_lshlrev_b64 v[10:11], 3, v[10:11]
	v_mad_u64_u32 v[25:26], null, s9, v107, v[21:22]
	v_add_co_u32 v38, s0, s2, v8
	v_add_co_ci_u32_e64 v39, s0, s3, v9, s0
	s_waitcnt vmcnt(0)
	v_mad_u64_u32 v[8:9], null, s9, v108, v[18:19]
	v_add_co_u32 v9, s0, v38, v10
	v_add_co_ci_u32_e64 v10, s0, v39, v11, s0
	v_add_co_u32 v26, s0, v9, s7
	v_add_co_ci_u32_e64 v27, s0, s6, v10, s0
	v_mov_b32_e32 v23, v8
	v_add_co_u32 v28, s0, v26, s7
	v_add_co_ci_u32_e64 v29, s0, s6, v27, s0
	v_lshlrev_b64 v[21:22], 3, v[22:23]
	v_add_co_u32 v30, s0, v28, s7
	v_add_co_ci_u32_e64 v31, s0, s6, v29, s0
	v_lshlrev_b64 v[23:24], 3, v[24:25]
	v_add_co_u32 v32, s0, v30, s7
	v_add_co_ci_u32_e64 v33, s0, s6, v31, s0
	v_add_co_u32 v34, s0, v32, s7
	v_add_co_ci_u32_e64 v35, s0, s6, v33, s0
	v_add_co_u32 v21, s0, v38, v21
	v_add_co_ci_u32_e64 v22, s0, v39, v22, s0
	v_add_co_u32 v36, s0, v34, s7
	v_add_co_ci_u32_e64 v37, s0, s6, v35, s0
	v_add_co_u32 v23, s0, v38, v23
	v_add_co_ci_u32_e64 v24, s0, v39, v24, s0
	v_add_co_u32 v38, s0, v36, s7
	v_add_co_ci_u32_e64 v39, s0, s6, v37, s0
	s_clause 0x3
	global_load_dwordx2 v[8:9], v[9:10], off
	global_load_dwordx2 v[10:11], v[21:22], off
	;; [unrolled: 1-line block ×4, first 2 shown]
	v_add_co_u32 v40, s0, 0x1800, v42
	v_mad_u64_u32 v[25:26], null, 0x500, s8, v[38:39]
	v_add_co_ci_u32_e64 v41, s0, 0, v43, s0
	v_add_co_u32 v42, s0, 0x2000, v42
	v_add_co_ci_u32_e64 v43, s0, 0, v43, s0
	v_mov_b32_e32 v18, v26
	v_add_co_u32 v57, s0, v25, s7
	global_load_dwordx2 v[27:28], v[28:29], off
	s_clause 0x2
	global_load_dwordx2 v[44:45], v[12:13], off offset:512
	global_load_dwordx2 v[46:47], v[12:13], off offset:1152
	;; [unrolled: 1-line block ×3, first 2 shown]
	s_clause 0x1
	global_load_dwordx2 v[29:30], v[30:31], off
	global_load_dwordx2 v[31:32], v[32:33], off
	v_mad_u64_u32 v[48:49], null, 0x500, s9, v[18:19]
	s_clause 0x1
	global_load_dwordx2 v[49:50], v[14:15], off offset:384
	global_load_dwordx2 v[14:15], v[14:15], off offset:1664
	global_load_dwordx2 v[33:34], v[34:35], off
	s_clause 0x3
	global_load_dwordx2 v[51:52], v[40:41], off offset:256
	global_load_dwordx2 v[53:54], v[40:41], off offset:896
	;; [unrolled: 1-line block ×4, first 2 shown]
	global_load_dwordx2 v[35:36], v[36:37], off
	global_load_dwordx2 v[37:38], v[38:39], off
	v_add_nc_u32_e32 v39, v111, v109
	v_mov_b32_e32 v26, v48
	v_lshl_add_u32 v48, v110, 3, v111
	v_add_nc_u32_e32 v71, 0x400, v39
	v_add_nc_u32_e32 v78, 0x1000, v39
	;; [unrolled: 1-line block ×3, first 2 shown]
	v_add_co_ci_u32_e64 v58, s0, s6, v26, s0
	v_add_co_u32 v59, s0, v57, s7
	global_load_dwordx2 v[25:26], v[25:26], off
	v_add_co_ci_u32_e64 v60, s0, s6, v58, s0
	v_add_co_u32 v61, s0, v59, s7
	global_load_dwordx2 v[57:58], v[57:58], off
	;; [unrolled: 3-line block ×5, first 2 shown]
	v_add_co_ci_u32_e64 v68, s0, s6, v66, s0
	global_load_dwordx2 v[65:66], v[65:66], off
	s_clause 0x1
	global_load_dwordx2 v[69:70], v[42:43], off offset:768
	global_load_dwordx2 v[42:43], v[42:43], off offset:1408
	global_load_dwordx2 v[67:68], v[67:68], off
	v_add_nc_u32_e32 v79, 0x1400, v39
	v_add_nc_u32_e32 v80, 0x1800, v39
	;; [unrolled: 1-line block ×3, first 2 shown]
	s_waitcnt vmcnt(27)
	v_mul_f32_e32 v73, v9, v1
	v_mul_f32_e32 v1, v8, v1
	s_waitcnt vmcnt(26)
	v_mul_f32_e32 v75, v11, v17
	v_mul_f32_e32 v18, v10, v17
	s_waitcnt vmcnt(25)
	v_mul_f32_e32 v17, v22, v20
	v_fmac_f32_e32 v73, v8, v0
	v_fma_f32 v74, v9, v0, -v1
	s_waitcnt vmcnt(24)
	v_mul_f32_e32 v0, v24, v3
	v_mul_f32_e32 v1, v23, v3
	v_fmac_f32_e32 v75, v10, v16
	v_fma_f32 v76, v11, v16, -v18
	ds_write_b64 v48, v[73:74]
	v_fmac_f32_e32 v0, v23, v2
	v_fma_f32 v1, v24, v2, -v1
	v_mul_f32_e32 v20, v21, v20
	v_fmac_f32_e32 v17, v21, v19
	s_waitcnt vmcnt(15)
	v_mul_f32_e32 v9, v34, v47
	v_mul_f32_e32 v3, v28, v5
	;; [unrolled: 1-line block ×6, first 2 shown]
	v_fmac_f32_e32 v3, v27, v4
	v_fma_f32 v4, v28, v4, -v8
	v_fmac_f32_e32 v5, v29, v6
	v_fma_f32 v6, v30, v6, -v2
	v_mul_f32_e32 v2, v31, v45
	s_waitcnt vmcnt(9)
	v_mul_f32_e32 v16, v37, v50
	v_fmac_f32_e32 v7, v31, v44
	v_mul_f32_e32 v10, v33, v47
	v_mul_f32_e32 v11, v36, v13
	v_fma_f32 v8, v32, v44, -v2
	v_mul_f32_e32 v2, v38, v50
	ds_write2_b64 v39, v[0:1], v[3:4] offset0:80 offset1:160
	ds_write2_b64 v71, v[5:6], v[7:8] offset0:112 offset1:192
	v_fma_f32 v3, v38, v49, -v16
	v_fmac_f32_e32 v2, v37, v49
	v_mul_f32_e32 v13, v35, v13
	v_fmac_f32_e32 v9, v33, v46
	v_fma_f32 v10, v34, v46, -v10
	v_fmac_f32_e32 v11, v35, v12
	ds_write2_b64 v78, v[2:3], v[75:76] offset0:48 offset1:128
	s_waitcnt vmcnt(7)
	v_mul_f32_e32 v3, v57, v52
	v_fma_f32 v12, v36, v12, -v13
	v_mul_f32_e32 v0, v26, v15
	v_mul_f32_e32 v1, v25, v15
	;; [unrolled: 1-line block ×3, first 2 shown]
	s_waitcnt vmcnt(6)
	v_mul_f32_e32 v2, v60, v54
	v_fma_f32 v5, v58, v51, -v3
	v_mul_f32_e32 v3, v59, v54
	s_waitcnt vmcnt(5)
	v_mul_f32_e32 v6, v62, v41
	v_mul_f32_e32 v7, v61, v41
	ds_write2_b64 v77, v[9:10], v[11:12] offset0:144 offset1:224
	v_fmac_f32_e32 v0, v25, v14
	v_fma_f32 v1, v26, v14, -v1
	s_waitcnt vmcnt(4)
	v_mul_f32_e32 v8, v64, v56
	v_mul_f32_e32 v9, v63, v56
	s_waitcnt vmcnt(2)
	v_mul_f32_e32 v10, v66, v70
	v_mul_f32_e32 v11, v65, v70
	;; [unrolled: 3-line block ×3, first 2 shown]
	v_fmac_f32_e32 v4, v57, v51
	v_fmac_f32_e32 v2, v59, v53
	v_fma_f32 v3, v60, v53, -v3
	v_fmac_f32_e32 v6, v61, v40
	v_fma_f32 v7, v62, v40, -v7
	;; [unrolled: 2-line block ×4, first 2 shown]
	v_fma_f32 v18, v22, v19, -v20
	v_fmac_f32_e32 v12, v67, v42
	v_fma_f32 v13, v68, v42, -v13
	v_add_nc_u32_e32 v14, 0x2400, v39
	ds_write2_b64 v79, v[0:1], v[4:5] offset0:80 offset1:160
	ds_write2_b64 v80, v[2:3], v[6:7] offset0:112 offset1:192
	;; [unrolled: 1-line block ×4, first 2 shown]
.LBB0_3:
	s_or_b32 exec_lo, exec_lo, s1
	v_mov_b32_e32 v0, 0
	v_mov_b32_e32 v1, 0
                                        ; kill: def $vgpr2 killed $sgpr0 killed $exec
	s_waitcnt lgkmcnt(0)
	s_barrier
	buffer_gl0_inv
                                        ; implicit-def: $vgpr6
                                        ; implicit-def: $vgpr32
                                        ; implicit-def: $vgpr10
                                        ; implicit-def: $vgpr14
                                        ; implicit-def: $vgpr22
                                        ; implicit-def: $vgpr26
                                        ; implicit-def: $vgpr30
                                        ; implicit-def: $vgpr18
	s_and_saveexec_b32 s0, vcc_lo
	s_cbranch_execz .LBB0_5
; %bb.4:
	v_lshl_add_u32 v32, v72, 3, v109
	ds_read2_b64 v[0:3], v32 offset1:80
	ds_read2_b64 v[16:19], v32 offset0:160 offset1:240
	v_add_nc_u32_e32 v4, 0x800, v32
	v_add_nc_u32_e32 v5, 0xc00, v32
	;; [unrolled: 1-line block ×6, first 2 shown]
	ds_read2_b64 v[28:31], v4 offset0:64 offset1:144
	ds_read2_b64 v[24:27], v5 offset0:96 offset1:176
	;; [unrolled: 1-line block ×6, first 2 shown]
	ds_read_b64 v[32:33], v32 offset:10240
.LBB0_5:
	s_or_b32 exec_lo, exec_lo, s0
	s_waitcnt lgkmcnt(0)
	v_sub_f32_e32 v42, v3, v33
	v_sub_f32_e32 v91, v2, v32
	v_add_f32_e32 v66, v32, v2
	v_sub_f32_e32 v44, v17, v7
	v_add_f32_e32 v67, v33, v3
	v_mul_f32_e32 v46, 0xbeb8f4ab, v42
	v_mul_f32_e32 v47, 0xbeb8f4ab, v91
	v_add_f32_e32 v70, v6, v16
	v_mul_f32_e32 v48, 0xbf2c7751, v44
	v_sub_f32_e32 v97, v16, v6
	v_fmamk_f32 v34, v66, 0x3f6eb680, v46
	v_fma_f32 v35, 0x3f6eb680, v67, -v47
	v_mul_f32_e32 v59, 0xbf2c7751, v42
	v_fmamk_f32 v38, v70, 0x3f3d2fb0, v48
	v_add_f32_e32 v75, v7, v17
	v_add_f32_e32 v34, v34, v0
	v_mul_f32_e32 v49, 0xbf2c7751, v97
	v_add_f32_e32 v35, v35, v1
	v_fmamk_f32 v36, v66, 0x3f3d2fb0, v59
	v_mul_f32_e32 v71, 0xbf7ee86f, v44
	v_add_f32_e32 v34, v38, v34
	v_fma_f32 v38, 0x3f3d2fb0, v75, -v49
	v_sub_f32_e32 v100, v18, v4
	v_mul_f32_e32 v77, 0xbf2c7751, v91
	v_add_f32_e32 v36, v36, v0
	v_sub_f32_e32 v45, v19, v5
	v_add_f32_e32 v35, v38, v35
	v_fmamk_f32 v38, v70, 0x3dbcf732, v71
	v_add_f32_e32 v81, v5, v19
	v_mul_f32_e32 v51, 0xbf65296c, v100
	v_fma_f32 v37, 0x3f3d2fb0, v67, -v77
	v_mul_f32_e32 v82, 0xbf7ee86f, v97
	v_add_f32_e32 v79, v4, v18
	v_add_f32_e32 v36, v38, v36
	v_fma_f32 v38, 0x3ee437d1, v81, -v51
	v_mul_f32_e32 v76, 0xbf4c4adb, v45
	v_sub_f32_e32 v103, v28, v10
	v_add_f32_e32 v37, v37, v1
	v_mul_f32_e32 v50, 0xbf65296c, v45
	v_fma_f32 v39, 0x3dbcf732, v75, -v82
	v_sub_f32_e32 v147, v29, v11
	v_mul_f32_e32 v85, 0xbf4c4adb, v100
	v_add_f32_e32 v35, v38, v35
	v_fmamk_f32 v38, v79, 0xbf1a4643, v76
	v_add_f32_e32 v86, v11, v29
	v_mul_f32_e32 v53, 0xbf7ee86f, v103
	v_sub_f32_e32 v104, v30, v8
	v_fmamk_f32 v40, v79, 0x3ee437d1, v50
	v_add_f32_e32 v37, v39, v37
	v_add_f32_e32 v83, v10, v28
	v_mul_f32_e32 v52, 0xbf7ee86f, v147
	v_fma_f32 v39, 0xbf1a4643, v81, -v85
	v_add_f32_e32 v36, v38, v36
	v_sub_f32_e32 v150, v31, v9
	v_fma_f32 v38, 0x3dbcf732, v86, -v53
	v_mul_f32_e32 v80, 0xbe3c28d5, v147
	v_add_f32_e32 v89, v9, v31
	v_mul_f32_e32 v55, 0xbf763a35, v104
	v_sub_f32_e32 v105, v24, v14
	v_add_f32_e32 v34, v40, v34
	v_fmamk_f32 v40, v83, 0x3dbcf732, v52
	v_add_f32_e32 v37, v39, v37
	v_mul_f32_e32 v88, 0xbe3c28d5, v103
	v_add_f32_e32 v87, v8, v30
	v_fmamk_f32 v39, v83, 0xbf7ba420, v80
	v_add_f32_e32 v35, v38, v35
	v_fma_f32 v38, 0xbe8c1d8e, v89, -v55
	v_sub_f32_e32 v151, v25, v15
	v_mul_f32_e32 v68, 0x3f06c442, v150
	v_add_f32_e32 v94, v15, v25
	v_mul_f32_e32 v57, 0xbf4c4adb, v105
	v_add_f32_e32 v34, v40, v34
	v_mul_f32_e32 v54, 0xbf763a35, v150
	v_fma_f32 v40, 0xbf7ba420, v86, -v88
	v_add_f32_e32 v36, v39, v36
	v_mul_f32_e32 v90, 0x3f06c442, v104
	v_add_f32_e32 v93, v14, v24
	v_fmamk_f32 v39, v87, 0xbf59a7d5, v68
	v_add_f32_e32 v35, v38, v35
	v_fma_f32 v38, 0xbf1a4643, v94, -v57
	v_mul_f32_e32 v73, 0x3f763a35, v151
	v_sub_f32_e32 v106, v26, v12
	v_fmamk_f32 v41, v87, 0xbe8c1d8e, v54
	v_add_f32_e32 v37, v40, v37
	v_mul_f32_e32 v56, 0xbf4c4adb, v151
	v_fma_f32 v40, 0xbf59a7d5, v89, -v90
	v_add_f32_e32 v36, v39, v36
	v_add_f32_e32 v35, v38, v35
	v_sub_f32_e32 v149, v27, v13
	v_mul_f32_e32 v95, 0x3f763a35, v105
	v_fmamk_f32 v38, v93, 0xbe8c1d8e, v73
	v_add_f32_e32 v99, v13, v27
	v_mul_f32_e32 v64, 0xbf06c442, v106
	s_clause 0x1
	s_load_dwordx2 s[6:7], s[4:5], 0x20
	s_load_dwordx2 s[2:3], s[4:5], 0x8
	v_add_f32_e32 v34, v41, v34
	v_fmamk_f32 v41, v93, 0xbf1a4643, v56
	v_add_f32_e32 v37, v40, v37
	v_add_f32_e32 v98, v12, v26
	v_mul_f32_e32 v58, 0xbf06c442, v149
	v_mul_f32_e32 v78, 0x3f65296c, v149
	v_fma_f32 v39, 0xbe8c1d8e, v94, -v95
	v_add_f32_e32 v36, v38, v36
	v_fma_f32 v38, 0xbf59a7d5, v99, -v64
	v_mul_f32_e32 v96, 0x3f65296c, v106
	v_sub_f32_e32 v148, v21, v23
	v_sub_f32_e32 v112, v20, v22
	v_add_f32_e32 v34, v41, v34
	v_fmamk_f32 v40, v98, 0xbf59a7d5, v58
	v_fmamk_f32 v41, v98, 0x3ee437d1, v78
	v_add_f32_e32 v37, v39, v37
	v_add_f32_e32 v35, v38, v35
	v_fma_f32 v38, 0x3ee437d1, v99, -v96
	v_add_f32_e32 v101, v22, v20
	v_add_f32_e32 v102, v23, v21
	v_mul_f32_e32 v65, 0xbe3c28d5, v148
	v_mul_f32_e32 v69, 0xbe3c28d5, v112
	;; [unrolled: 1-line block ×4, first 2 shown]
	v_add_f32_e32 v34, v40, v34
	v_add_f32_e32 v36, v41, v36
	;; [unrolled: 1-line block ×3, first 2 shown]
	v_fmamk_f32 v38, v101, 0xbf7ba420, v65
	v_fma_f32 v39, 0xbf7ba420, v102, -v69
	v_fmamk_f32 v40, v101, 0x3f6eb680, v74
	v_fma_f32 v41, 0x3f6eb680, v102, -v84
	s_waitcnt lgkmcnt(0)
	v_add_f32_e32 v62, v38, v34
	v_add_f32_e32 v63, v39, v35
	;; [unrolled: 1-line block ×4, first 2 shown]
	s_barrier
	buffer_gl0_inv
	s_and_saveexec_b32 s0, vcc_lo
	s_cbranch_execz .LBB0_7
; %bb.6:
	v_mul_f32_e32 v126, 0x3ee437d1, v67
	v_mul_f32_e32 v124, 0xbf1a4643, v75
	;; [unrolled: 1-line block ×5, first 2 shown]
	v_fmamk_f32 v34, v91, 0x3f65296c, v126
	v_fmamk_f32 v36, v97, 0x3f4c4adb, v124
	;; [unrolled: 1-line block ×3, first 2 shown]
	v_mul_f32_e32 v125, 0xbe8c1d8e, v86
	v_mul_f32_e32 v121, 0x3e3c28d5, v45
	v_add_f32_e32 v34, v34, v1
	v_fmamk_f32 v37, v70, 0xbf1a4643, v120
	v_add_f32_e32 v35, v35, v0
	v_fmamk_f32 v38, v100, 0xbe3c28d5, v123
	v_mul_f32_e32 v122, 0x3f3d2fb0, v89
	v_add_f32_e32 v34, v36, v34
	v_mul_f32_e32 v118, 0x3f763a35, v147
	v_fmamk_f32 v36, v79, 0xbf7ba420, v121
	v_add_f32_e32 v35, v37, v35
	v_fmamk_f32 v37, v103, 0xbf763a35, v125
	v_add_f32_e32 v34, v38, v34
	v_mul_f32_e32 v117, 0x3f2c7751, v150
	v_fmamk_f32 v38, v83, 0xbe8c1d8e, v118
	v_add_f32_e32 v35, v36, v35
	v_fmamk_f32 v36, v104, 0xbf2c7751, v122
	v_add_f32_e32 v34, v37, v34
	v_mul_f32_e32 v127, 0x3f6eb680, v94
	v_fmamk_f32 v37, v87, 0x3f3d2fb0, v117
	v_add_f32_e32 v35, v38, v35
	v_mul_f32_e32 v116, 0xbeb8f4ab, v151
	v_add_f32_e32 v34, v36, v34
	v_fmamk_f32 v36, v105, 0x3eb8f4ab, v127
	v_mul_f32_e32 v128, 0x3dbcf732, v99
	v_add_f32_e32 v35, v37, v35
	v_fmamk_f32 v37, v93, 0x3f6eb680, v116
	;; [unrolled: 3-line block ×3, first 2 shown]
	v_mul_f32_e32 v113, 0xbf59a7d5, v102
	v_mul_f32_e32 v143, 0x3dbcf732, v67
	v_add_f32_e32 v35, v37, v35
	v_fmamk_f32 v37, v98, 0x3dbcf732, v115
	v_add_f32_e32 v34, v36, v34
	v_fmamk_f32 v36, v112, 0x3f06c442, v113
	v_mul_f32_e32 v139, 0xbf7ee86f, v42
	v_fmamk_f32 v39, v91, 0x3f7ee86f, v143
	v_mul_f32_e32 v144, 0xbf7ba420, v75
	v_add_f32_e32 v37, v37, v35
	v_add_f32_e32 v35, v36, v34
	v_fmamk_f32 v34, v66, 0x3dbcf732, v139
	v_mul_f32_e32 v140, 0xbe3c28d5, v44
	v_add_f32_e32 v36, v39, v1
	v_fmamk_f32 v39, v97, 0x3e3c28d5, v144
	v_mul_f32_e32 v142, 0xbe8c1d8e, v81
	;; [unrolled: 3-line block ×8, first 2 shown]
	v_mul_f32_e32 v114, 0xbf06c442, v148
	v_add_f32_e32 v34, v40, v34
	v_fmamk_f32 v40, v87, 0x3ee437d1, v135
	v_mul_f32_e32 v133, 0xbf06c442, v151
	v_add_f32_e32 v36, v39, v36
	v_fmamk_f32 v39, v105, 0x3f06c442, v134
	v_mul_f32_e32 v131, 0xbf1a4643, v99
	v_fmamk_f32 v38, v101, 0xbf59a7d5, v114
	v_add_f32_e32 v34, v40, v34
	v_fmamk_f32 v40, v93, 0xbf59a7d5, v133
	v_add_f32_e32 v36, v39, v36
	v_fmamk_f32 v39, v106, 0xbf4c4adb, v131
	v_mul_f32_e32 v129, 0x3f3d2fb0, v102
	v_mul_f32_e32 v132, 0x3f4c4adb, v149
	v_add_f32_e32 v40, v40, v34
	v_add_f32_e32 v34, v38, v37
	;; [unrolled: 1-line block ×3, first 2 shown]
	v_fmamk_f32 v37, v112, 0xbf2c7751, v129
	v_mul_f32_e32 v154, 0xbe8c1d8e, v67
	v_fmamk_f32 v41, v98, 0xbf1a4643, v132
	v_mul_f32_e32 v156, 0xbf59a7d5, v75
	v_mul_f32_e32 v158, 0x3f3d2fb0, v81
	v_add_f32_e32 v37, v37, v36
	v_fmamk_f32 v36, v91, 0x3f763a35, v154
	v_add_f32_e32 v38, v41, v40
	v_fmamk_f32 v41, v97, 0xbf06c442, v156
	v_mul_f32_e32 v160, 0x3ee437d1, v86
	v_mul_f32_e32 v162, 0xbf7ba420, v89
	v_add_f32_e32 v36, v36, v1
	v_mul_f32_e32 v164, 0x3dbcf732, v94
	v_mul_f32_e32 v130, 0x3f2c7751, v148
	;; [unrolled: 1-line block ×4, first 2 shown]
	v_add_f32_e32 v36, v41, v36
	v_fmamk_f32 v41, v100, 0xbf2c7751, v158
	v_fmamk_f32 v39, v101, 0x3f3d2fb0, v130
	;; [unrolled: 1-line block ×3, first 2 shown]
	v_mul_f32_e32 v168, 0xbf1a4643, v102
	v_fmamk_f32 v40, v66, 0xbe8c1d8e, v155
	v_add_f32_e32 v36, v41, v36
	v_fmamk_f32 v41, v103, 0x3f65296c, v160
	v_mul_f32_e32 v157, 0x3f06c442, v44
	v_mul_f32_e32 v169, 0xbf1a4643, v67
	v_add_f32_e32 v40, v40, v0
	v_mul_f32_e32 v159, 0x3f2c7751, v45
	v_add_f32_e32 v36, v41, v36
	v_fmamk_f32 v41, v104, 0x3e3c28d5, v162
	v_fmamk_f32 v43, v70, 0xbf59a7d5, v157
	v_mul_f32_e32 v172, 0xbe8c1d8e, v75
	v_mul_f32_e32 v161, 0xbf65296c, v147
	;; [unrolled: 1-line block ×3, first 2 shown]
	v_add_f32_e32 v36, v41, v36
	v_fmamk_f32 v41, v105, 0xbf7ee86f, v164
	v_add_f32_e32 v40, v43, v40
	v_fmamk_f32 v43, v79, 0x3f3d2fb0, v159
	v_mul_f32_e32 v163, 0xbe3c28d5, v150
	v_mul_f32_e32 v176, 0xbf59a7d5, v86
	v_add_f32_e32 v41, v41, v36
	v_add_f32_e32 v36, v39, v38
	v_fmamk_f32 v39, v112, 0x3f4c4adb, v168
	v_add_f32_e32 v40, v43, v40
	v_fmamk_f32 v43, v83, 0x3ee437d1, v161
	;; [unrolled: 2-line block ×3, first 2 shown]
	v_mul_f32_e32 v165, 0x3f7ee86f, v151
	v_mul_f32_e32 v178, 0x3dbcf732, v89
	v_add_f32_e32 v40, v43, v40
	v_add_f32_e32 v39, v39, v38
	v_fmamk_f32 v38, v91, 0x3f4c4adb, v169
	v_fmamk_f32 v43, v87, 0xbf7ba420, v163
	v_mul_f32_e32 v167, 0xbeb8f4ab, v149
	v_mul_f32_e32 v180, 0x3f3d2fb0, v94
	;; [unrolled: 1-line block ×3, first 2 shown]
	v_add_f32_e32 v38, v38, v1
	v_add_f32_e32 v40, v43, v40
	v_fmamk_f32 v43, v93, 0x3dbcf732, v165
	v_mul_f32_e32 v181, 0xbf7ba420, v99
	v_mul_f32_e32 v171, 0xbf4c4adb, v42
	v_add_f32_e32 v38, v145, v38
	v_fmamk_f32 v145, v100, 0x3eb8f4ab, v174
	v_add_f32_e32 v40, v43, v40
	v_fmamk_f32 v43, v98, 0x3f6eb680, v167
	v_fmamk_f32 v41, v101, 0xbf1a4643, v170
	;; [unrolled: 1-line block ×3, first 2 shown]
	v_add_f32_e32 v38, v145, v38
	v_fmamk_f32 v145, v103, 0x3f06c442, v176
	v_add_f32_e32 v40, v43, v40
	v_fmamk_f32 v43, v66, 0xbf1a4643, v171
	v_mul_f32_e32 v173, 0x3f763a35, v44
	v_mul_f32_e32 v175, 0xbeb8f4ab, v45
	v_add_f32_e32 v38, v145, v38
	v_fmamk_f32 v145, v104, 0xbf7ee86f, v178
	v_add_f32_e32 v43, v43, v0
	v_fmamk_f32 v146, v70, 0xbe8c1d8e, v173
	v_mul_f32_e32 v184, 0x3ee437d1, v75
	v_mul_f32_e32 v177, 0xbf06c442, v147
	v_add_f32_e32 v38, v145, v38
	v_fmamk_f32 v145, v105, 0x3f2c7751, v180
	v_add_f32_e32 v43, v146, v43
	v_fmamk_f32 v146, v79, 0x3f6eb680, v175
	v_fmamk_f32 v188, v97, 0xbf65296c, v184
	v_mul_f32_e32 v189, 0x3dbcf732, v81
	v_add_f32_e32 v182, v145, v38
	v_mul_f32_e32 v145, 0x3ee437d1, v102
	v_add_f32_e32 v38, v41, v40
	v_add_f32_e32 v43, v146, v43
	v_fmamk_f32 v146, v83, 0xbf59a7d5, v177
	v_add_f32_e32 v40, v183, v182
	v_fmamk_f32 v41, v112, 0xbf65296c, v145
	v_mul_f32_e32 v182, 0xbf59a7d5, v67
	v_mul_f32_e32 v183, 0xbf06c442, v42
	;; [unrolled: 1-line block ×4, first 2 shown]
	v_add_f32_e32 v41, v41, v40
	v_fmamk_f32 v40, v91, 0x3f06c442, v182
	v_fmamk_f32 v186, v66, 0xbf59a7d5, v183
	v_mul_f32_e32 v192, 0xbf1a4643, v86
	v_add_f32_e32 v43, v146, v43
	v_fmamk_f32 v146, v87, 0x3dbcf732, v179
	v_add_f32_e32 v40, v40, v1
	v_mul_f32_e32 v153, 0xbf2c7751, v151
	v_add_f32_e32 v186, v186, v0
	v_fmamk_f32 v190, v70, 0x3ee437d1, v187
	v_mul_f32_e32 v191, 0xbf7ee86f, v45
	v_add_f32_e32 v40, v188, v40
	v_fmamk_f32 v188, v100, 0x3f7ee86f, v189
	;; [unrolled: 3-line block ×4, first 2 shown]
	v_add_f32_e32 v186, v190, v186
	v_fmamk_f32 v190, v79, 0x3dbcf732, v191
	v_mul_f32_e32 v193, 0x3f4c4adb, v147
	v_mul_f32_e32 v196, 0xbf7ba420, v94
	v_add_f32_e32 v40, v188, v40
	v_fmamk_f32 v188, v104, 0x3eb8f4ab, v194
	v_add_f32_e32 v43, v146, v43
	v_fmamk_f32 v146, v98, 0xbf7ba420, v152
	;; [unrolled: 2-line block ×3, first 2 shown]
	v_mul_f32_e32 v195, 0xbeb8f4ab, v150
	v_add_f32_e32 v40, v188, v40
	v_fmamk_f32 v188, v105, 0x3e3c28d5, v196
	v_mul_f32_e32 v198, 0x3f3d2fb0, v99
	v_add_f32_e32 v43, v146, v43
	v_mul_f32_e32 v146, 0x3f65296c, v148
	v_add_f32_e32 v186, v190, v186
	v_fmamk_f32 v190, v87, 0x3f6eb680, v195
	v_mul_f32_e32 v197, 0xbe3c28d5, v151
	v_add_f32_e32 v40, v188, v40
	v_fmamk_f32 v188, v106, 0xbf2c7751, v198
	v_mul_f32_e32 v200, 0xbe8c1d8e, v102
	v_fmamk_f32 v185, v101, 0x3ee437d1, v146
	v_add_f32_e32 v186, v190, v186
	v_fmamk_f32 v190, v93, 0xbf7ba420, v197
	v_mul_f32_e32 v199, 0x3f2c7751, v149
	v_add_f32_e32 v188, v188, v40
	v_fmamk_f32 v202, v112, 0x3f763a35, v200
	v_mul_f32_e32 v201, 0xbf7ba420, v67
	v_add_f32_e32 v186, v190, v186
	v_fmamk_f32 v190, v98, 0x3f3d2fb0, v199
	v_add_f32_e32 v40, v185, v43
	v_add_f32_e32 v43, v202, v188
	v_mul_f32_e32 v202, 0xbe3c28d5, v42
	v_mul_f32_e32 v206, 0x3eb8f4ab, v44
	v_add_f32_e32 v185, v190, v186
	v_fmamk_f32 v186, v91, 0x3e3c28d5, v201
	v_mul_f32_e32 v190, 0x3f6eb680, v75
	v_fmamk_f32 v205, v66, 0xbf7ba420, v202
	v_mul_f32_e32 v203, 0xbf59a7d5, v81
	v_fmamk_f32 v207, v70, 0x3f6eb680, v206
	v_add_f32_e32 v42, v186, v1
	v_fmamk_f32 v186, v97, 0xbeb8f4ab, v190
	v_add_f32_e32 v205, v205, v0
	v_mul_f32_e32 v208, 0xbf06c442, v45
	v_fmamk_f32 v44, v100, 0x3f06c442, v203
	v_mul_f32_e32 v188, 0xbf763a35, v148
	v_add_f32_e32 v42, v186, v42
	v_mul_f32_e32 v186, 0x3f3d2fb0, v86
	v_add_f32_e32 v45, v207, v205
	v_fmamk_f32 v205, v79, 0xbf59a7d5, v208
	v_mul_f32_e32 v207, 0x3f2c7751, v147
	v_add_f32_e32 v42, v44, v42
	v_fmamk_f32 v44, v103, 0xbf2c7751, v186
	v_mul_f32_e32 v209, 0xbf1a4643, v89
	v_add_f32_e32 v45, v205, v45
	v_fmamk_f32 v147, v83, 0x3f3d2fb0, v207
	v_mul_f32_e32 v205, 0xbf4c4adb, v150
	v_fmamk_f32 v204, v101, 0xbe8c1d8e, v188
	v_add_f32_e32 v42, v44, v42
	v_fmamk_f32 v44, v104, 0x3f4c4adb, v209
	v_mul_f32_e32 v210, 0x3ee437d1, v94
	v_add_f32_e32 v45, v147, v45
	v_fmamk_f32 v147, v87, 0xbf1a4643, v205
	v_mul_f32_e32 v151, 0x3f65296c, v151
	v_add_f32_e32 v44, v44, v42
	v_fmamk_f32 v150, v105, 0xbf65296c, v210
	v_add_f32_e32 v42, v204, v185
	v_fmac_f32_e32 v182, 0xbf06c442, v91
	v_mul_f32_e32 v185, 0xbe8c1d8e, v99
	v_add_f32_e32 v45, v147, v45
	v_fmamk_f32 v147, v93, 0x3ee437d1, v151
	v_mul_f32_e32 v204, 0xbf763a35, v149
	v_add_f32_e32 v44, v150, v44
	v_add_f32_e32 v149, v182, v1
	v_fmamk_f32 v150, v106, 0x3f763a35, v185
	v_add_f32_e32 v45, v147, v45
	v_fmamk_f32 v147, v98, 0xbe8c1d8e, v204
	v_fma_f32 v182, 0xbf59a7d5, v66, -v183
	v_fmac_f32_e32 v184, 0x3f65296c, v97
	v_add_f32_e32 v44, v150, v44
	v_fma_f32 v150, 0x3ee437d1, v70, -v187
	v_add_f32_e32 v147, v147, v45
	v_add_f32_e32 v45, v182, v0
	v_mul_f32_e32 v182, 0x3f7ee86f, v148
	v_mul_f32_e32 v183, 0x3dbcf732, v102
	v_fma_f32 v148, 0x3dbcf732, v79, -v191
	v_add_f32_e32 v149, v184, v149
	v_add_f32_e32 v45, v150, v45
	v_fmamk_f32 v184, v101, 0x3dbcf732, v182
	v_fmamk_f32 v150, v112, 0xbf7ee86f, v183
	v_fma_f32 v187, 0xbf1a4643, v83, -v193
	v_fmac_f32_e32 v189, 0xbf7ee86f, v100
	v_add_f32_e32 v148, v148, v45
	v_fmac_f32_e32 v154, 0xbf763a35, v91
	v_add_f32_e32 v45, v150, v44
	v_add_f32_e32 v44, v184, v147
	v_fma_f32 v150, 0xbe8c1d8e, v66, -v155
	v_add_f32_e32 v147, v187, v148
	v_fma_f32 v148, 0x3f6eb680, v87, -v195
	v_fma_f32 v139, 0x3dbcf732, v66, -v139
	v_add_f32_e32 v149, v189, v149
	v_fmac_f32_e32 v192, 0x3f4c4adb, v103
	v_add_f32_e32 v154, v154, v1
	v_add_f32_e32 v147, v148, v147
	v_fma_f32 v148, 0xbf7ba420, v93, -v197
	v_fmac_f32_e32 v156, 0x3f06c442, v97
	v_add_f32_e32 v150, v150, v0
	v_fma_f32 v155, 0xbf59a7d5, v70, -v157
	v_fmac_f32_e32 v201, 0xbe3c28d5, v91
	v_fmac_f32_e32 v169, 0xbf4c4adb, v91
	;; [unrolled: 1-line block ×4, first 2 shown]
	v_add_f32_e32 v91, v139, v0
	v_fma_f32 v139, 0xbf7ba420, v70, -v140
	v_add_f32_e32 v149, v192, v149
	v_fmac_f32_e32 v194, 0xbeb8f4ab, v104
	v_add_f32_e32 v147, v148, v147
	v_fma_f32 v148, 0x3f3d2fb0, v98, -v199
	v_add_f32_e32 v154, v156, v154
	v_fmac_f32_e32 v158, 0x3f2c7751, v100
	v_add_f32_e32 v150, v155, v150
	v_fma_f32 v155, 0x3f3d2fb0, v79, -v159
	v_fmac_f32_e32 v190, 0x3eb8f4ab, v97
	v_fmac_f32_e32 v172, 0x3f763a35, v97
	;; [unrolled: 1-line block ×4, first 2 shown]
	v_add_f32_e32 v97, v126, v1
	v_add_f32_e32 v91, v139, v91
	v_fma_f32 v137, 0xbe8c1d8e, v79, -v137
	v_add_f32_e32 v149, v194, v149
	v_fmac_f32_e32 v196, 0xbe3c28d5, v105
	v_add_f32_e32 v147, v148, v147
	v_add_f32_e32 v148, v158, v154
	;; [unrolled: 1-line block ×3, first 2 shown]
	v_fma_f32 v154, 0x3ee437d1, v83, -v161
	v_add_f32_e32 v97, v124, v97
	v_add_f32_e32 v91, v137, v91
	v_fma_f32 v124, 0x3f6eb680, v83, -v136
	v_add_f32_e32 v149, v196, v149
	v_fmac_f32_e32 v198, 0x3f2c7751, v106
	v_fmac_f32_e32 v160, 0xbf65296c, v103
	v_add_f32_e32 v150, v154, v150
	v_fma_f32 v154, 0xbf7ba420, v87, -v163
	v_fmac_f32_e32 v186, 0x3f2c7751, v103
	v_fmac_f32_e32 v176, 0xbf06c442, v103
	;; [unrolled: 1-line block ×4, first 2 shown]
	v_add_f32_e32 v91, v124, v91
	v_fma_f32 v103, 0x3ee437d1, v87, -v135
	v_add_f32_e32 v149, v198, v149
	v_fmac_f32_e32 v200, 0xbf763a35, v112
	v_add_f32_e32 v156, v160, v148
	v_fmac_f32_e32 v162, 0xbe3c28d5, v104
	v_add_f32_e32 v150, v154, v150
	v_fma_f32 v154, 0x3dbcf732, v93, -v165
	v_add_f32_e32 v91, v103, v91
	v_fma_f32 v103, 0xbf59a7d5, v93, -v133
	v_fma_f32 v119, 0x3ee437d1, v66, -v119
	v_add_f32_e32 v148, v200, v149
	v_add_f32_e32 v149, v162, v156
	v_fmac_f32_e32 v164, 0x3f7ee86f, v105
	v_add_f32_e32 v156, v201, v1
	v_add_f32_e32 v150, v154, v150
	v_fma_f32 v154, 0x3f6eb680, v98, -v167
	v_fmac_f32_e32 v210, 0x3f65296c, v105
	v_fmac_f32_e32 v180, 0xbf2c7751, v105
	;; [unrolled: 1-line block ×4, first 2 shown]
	v_add_f32_e32 v91, v103, v91
	v_add_f32_e32 v103, v119, v0
	v_fma_f32 v105, 0xbf1a4643, v70, -v120
	v_fma_f32 v155, 0xbe8c1d8e, v101, -v188
	v_add_f32_e32 v149, v164, v149
	v_fmac_f32_e32 v166, 0xbeb8f4ab, v106
	v_add_f32_e32 v156, v190, v156
	v_fmac_f32_e32 v203, 0xbf06c442, v100
	v_add_f32_e32 v154, v154, v150
	v_fma_f32 v150, 0xbf7ba420, v66, -v202
	v_add_f32_e32 v103, v105, v103
	v_fma_f32 v105, 0xbf7ba420, v79, -v121
	v_add_f32_e32 v147, v155, v147
	v_add_f32_e32 v149, v166, v149
	;; [unrolled: 1-line block ×3, first 2 shown]
	v_fmac_f32_e32 v168, 0xbf4c4adb, v112
	v_add_f32_e32 v157, v150, v0
	v_fma_f32 v158, 0x3f6eb680, v70, -v206
	v_fmac_f32_e32 v185, 0xbf763a35, v106
	v_fmac_f32_e32 v181, 0xbe3c28d5, v106
	v_fmac_f32_e32 v131, 0x3f4c4adb, v106
	v_fmac_f32_e32 v128, 0xbf7ee86f, v106
	v_add_f32_e32 v103, v105, v103
	v_mul_f32_e32 v105, 0x3f3d2fb0, v67
	v_fma_f32 v106, 0xbe8c1d8e, v83, -v118
	v_add_f32_e32 v155, v186, v155
	v_fmac_f32_e32 v209, 0xbf4c4adb, v104
	v_add_f32_e32 v150, v168, v149
	v_add_f32_e32 v149, v158, v157
	v_fma_f32 v157, 0xbf59a7d5, v79, -v208
	v_mul_f32_e32 v118, 0x3dbcf732, v75
	v_add_f32_e32 v77, v77, v105
	v_add_f32_e32 v103, v106, v103
	v_fma_f32 v105, 0x3f3d2fb0, v87, -v117
	v_fma_f32 v156, 0xbf1a4643, v101, -v170
	v_add_f32_e32 v155, v209, v155
	v_add_f32_e32 v158, v169, v1
	;; [unrolled: 1-line block ×3, first 2 shown]
	v_fma_f32 v159, 0x3f3d2fb0, v83, -v207
	v_fmac_f32_e32 v183, 0x3f7ee86f, v112
	v_fmac_f32_e32 v145, 0x3f65296c, v112
	;; [unrolled: 1-line block ×4, first 2 shown]
	v_add_f32_e32 v82, v82, v118
	v_add_f32_e32 v77, v77, v1
	;; [unrolled: 1-line block ×3, first 2 shown]
	v_mul_f32_e32 v105, 0xbf1a4643, v81
	v_mul_f32_e32 v112, 0x3f3d2fb0, v75
	v_fma_f32 v75, 0x3f6eb680, v93, -v116
	v_add_f32_e32 v149, v156, v154
	v_add_f32_e32 v154, v210, v155
	;; [unrolled: 1-line block ×4, first 2 shown]
	v_fma_f32 v157, 0xbf1a4643, v87, -v205
	v_fma_f32 v158, 0xbf1a4643, v66, -v171
	v_add_f32_e32 v77, v82, v77
	v_add_f32_e32 v85, v85, v105
	;; [unrolled: 1-line block ×3, first 2 shown]
	v_mul_f32_e32 v103, 0xbf7ba420, v86
	v_fma_f32 v115, 0x3dbcf732, v98, -v115
	v_add_f32_e32 v156, v157, v156
	v_fma_f32 v151, 0x3ee437d1, v93, -v151
	v_add_f32_e32 v157, v158, v0
	;; [unrolled: 2-line block ×3, first 2 shown]
	v_add_f32_e32 v88, v88, v103
	v_add_f32_e32 v75, v115, v75
	v_mul_f32_e32 v115, 0xbe8c1d8e, v89
	v_mul_f32_e32 v89, 0xbf59a7d5, v89
	v_add_f32_e32 v151, v151, v156
	v_add_f32_e32 v156, v158, v157
	v_fma_f32 v157, 0x3f6eb680, v79, -v175
	v_mul_f32_e32 v106, 0x3f6eb680, v66
	v_mul_f32_e32 v66, 0x3f3d2fb0, v66
	v_add_f32_e32 v77, v88, v77
	v_mul_f32_e32 v116, 0xbf1a4643, v94
	v_mul_f32_e32 v94, 0xbe8c1d8e, v94
	v_add_f32_e32 v89, v90, v89
	v_add_f32_e32 v156, v157, v156
	v_fma_f32 v157, 0xbf59a7d5, v83, -v177
	v_fma_f32 v119, 0xbf1a4643, v98, -v132
	v_mul_f32_e32 v82, 0x3f3d2fb0, v70
	v_mul_f32_e32 v70, 0x3dbcf732, v70
	;; [unrolled: 1-line block ×4, first 2 shown]
	v_sub_f32_e32 v59, v66, v59
	v_mul_f32_e32 v90, 0xbf59a7d5, v99
	v_mul_f32_e32 v99, 0x3ee437d1, v99
	v_add_f32_e32 v77, v89, v77
	v_add_f32_e32 v89, v95, v94
	;; [unrolled: 1-line block ×5, first 2 shown]
	v_mul_f32_e32 v105, 0x3ee437d1, v79
	v_mul_f32_e32 v79, 0xbf1a4643, v79
	v_sub_f32_e32 v66, v70, v71
	v_add_f32_e32 v59, v59, v0
	v_mul_f32_e32 v119, 0xbf7ba420, v102
	v_mul_f32_e32 v102, 0x3f6eb680, v102
	v_sub_f32_e32 v80, v83, v80
	v_add_f32_e32 v77, v89, v77
	v_add_f32_e32 v83, v96, v99
	;; [unrolled: 1-line block ×4, first 2 shown]
	v_mul_f32_e32 v67, 0x3f6eb680, v67
	v_add_f32_e32 v117, v66, v59
	v_sub_f32_e32 v79, v79, v76
	v_add_f32_e32 v77, v83, v77
	v_add_f32_e32 v16, v84, v102
	;; [unrolled: 1-line block ×5, first 2 shown]
	v_fma_f32 v157, 0x3dbcf732, v87, -v179
	v_mul_f32_e32 v103, 0xbe8c1d8e, v87
	v_mul_f32_e32 v87, 0xbf59a7d5, v87
	v_add_f32_e32 v79, v79, v117
	v_add_f32_e32 v2, v16, v77
	;; [unrolled: 1-line block ×6, first 2 shown]
	v_fma_f32 v153, 0x3f3d2fb0, v93, -v153
	v_mul_f32_e32 v88, 0xbf1a4643, v93
	v_mul_f32_e32 v93, 0xbe8c1d8e, v93
	v_add_f32_e32 v79, v80, v79
	v_sub_f32_e32 v68, v87, v68
	v_add_f32_e32 v1, v16, v1
	v_add_f32_e32 v16, v49, v112
	v_add_f32_e32 v3, v31, v3
	v_add_f32_e32 v18, v30, v18
	v_fmac_f32_e32 v174, 0xbeb8f4ab, v100
	v_fma_f32 v158, 0xbe8c1d8e, v98, -v204
	v_fmac_f32_e32 v142, 0x3f763a35, v100
	v_fmac_f32_e32 v123, 0x3e3c28d5, v100
	v_fma_f32 v100, 0xbf7ba420, v98, -v152
	v_mul_f32_e32 v71, 0xbf59a7d5, v98
	v_mul_f32_e32 v98, 0x3ee437d1, v98
	v_add_f32_e32 v17, v68, v79
	v_sub_f32_e32 v68, v93, v73
	v_add_f32_e32 v1, v16, v1
	v_add_f32_e32 v3, v25, v3
	;; [unrolled: 1-line block ×3, first 2 shown]
	v_sub_f32_e32 v19, v98, v78
	v_add_f32_e32 v17, v68, v17
	v_mul_f32_e32 v81, 0x3ee437d1, v81
	v_add_f32_e32 v3, v27, v3
	v_add_f32_e32 v16, v26, v16
	;; [unrolled: 1-line block ×4, first 2 shown]
	v_sub_f32_e32 v19, v106, v46
	v_add_f32_e32 v3, v21, v3
	v_add_f32_e32 v16, v20, v16
	v_mul_f32_e32 v86, 0x3dbcf732, v86
	v_add_f32_e32 v18, v51, v81
	v_add_f32_e32 v0, v19, v0
	v_sub_f32_e32 v19, v82, v48
	v_add_f32_e32 v3, v23, v3
	v_add_f32_e32 v16, v22, v16
	;; [unrolled: 1-line block ×5, first 2 shown]
	v_sub_f32_e32 v19, v105, v50
	v_add_f32_e32 v3, v13, v3
	v_add_f32_e32 v12, v12, v16
	v_fmac_f32_e32 v178, 0x3f7ee86f, v104
	v_add_f32_e32 v1, v18, v1
	v_add_f32_e32 v18, v53, v86
	;; [unrolled: 1-line block ×3, first 2 shown]
	v_sub_f32_e32 v19, v85, v52
	v_add_f32_e32 v3, v15, v3
	v_add_f32_e32 v12, v14, v12
	;; [unrolled: 1-line block ×8, first 2 shown]
	v_sub_f32_e32 v16, v103, v54
	v_add_f32_e32 v3, v9, v3
	v_add_f32_e32 v8, v8, v12
	;; [unrolled: 1-line block ×3, first 2 shown]
	v_fmac_f32_e32 v122, 0x3f2c7751, v104
	v_add_f32_e32 v126, v141, v142
	v_fmac_f32_e32 v138, 0xbf65296c, v104
	v_add_f32_e32 v155, v180, v155
	v_add_f32_e32 v1, v18, v1
	;; [unrolled: 1-line block ×4, first 2 shown]
	v_sub_f32_e32 v9, v88, v56
	v_add_f32_e32 v3, v11, v3
	v_add_f32_e32 v8, v10, v8
	;; [unrolled: 1-line block ×6, first 2 shown]
	v_mul_f32_e32 v118, 0xbf7ba420, v101
	v_add_f32_e32 v1, v13, v1
	v_add_f32_e32 v13, v64, v90
	;; [unrolled: 1-line block ×3, first 2 shown]
	v_sub_f32_e32 v9, v71, v58
	v_add_f32_e32 v3, v5, v3
	v_add_f32_e32 v4, v4, v8
	v_mul_lo_u16 v5, v110, 17
	v_add_f32_e32 v97, v127, v97
	v_fma_f32 v120, 0x3dbcf732, v101, -v182
	v_fma_f32 v121, 0x3ee437d1, v101, -v146
	;; [unrolled: 1-line block ×4, first 2 shown]
	v_mul_f32_e32 v101, 0x3f6eb680, v101
	v_add_f32_e32 v104, v134, v126
	v_add_f32_e32 v140, v153, v155
	;; [unrolled: 1-line block ×5, first 2 shown]
	v_sub_f32_e32 v8, v118, v65
	v_add_f32_e32 v7, v7, v3
	v_add_f32_e32 v9, v6, v4
	v_and_b32_e32 v11, 0xffff, v5
	v_add_f32_e32 v97, v128, v97
	v_sub_f32_e32 v12, v101, v74
	v_add_f32_e32 v104, v131, v104
	v_add_f32_e32 v100, v100, v140
	;; [unrolled: 1-line block ×8, first 2 shown]
	v_add_lshl_u32 v0, v72, v11, 3
	v_add_f32_e32 v76, v113, v97
	v_add_f32_e32 v75, v114, v75
	;; [unrolled: 1-line block ×9, first 2 shown]
	ds_write2_b64 v0, v[5:6], v[3:4] offset1:1
	ds_write2_b64 v0, v[1:2], v[75:76] offset0:2 offset1:3
	ds_write2_b64 v0, v[69:70], v[149:150] offset0:4 offset1:5
	;; [unrolled: 1-line block ×7, first 2 shown]
	ds_write_b64 v0, v[62:63] offset:128
.LBB0_7:
	s_or_b32 exec_lo, exec_lo, s0
	v_add_lshl_u32 v112, v72, v110, 3
	s_waitcnt lgkmcnt(0)
	s_barrier
	buffer_gl0_inv
	v_cmp_gt_u16_e64 s0, 17, v110
	v_add_nc_u32_e32 v0, 0x400, v112
	v_add_nc_u32_e32 v1, 0x1000, v112
	;; [unrolled: 1-line block ×5, first 2 shown]
	ds_read2_b64 v[36:39], v0 offset0:42 offset1:144
	v_add_nc_u32_e32 v0, 0x1800, v112
	ds_read2_b64 v[32:35], v112 offset1:85
	ds_read2_b64 v[56:59], v1 offset0:32 offset1:117
	ds_read2_b64 v[40:43], v2 offset0:74 offset1:176
	ds_read2_b64 v[52:55], v3 offset0:64 offset1:149
	ds_read2_b64 v[48:51], v4 offset0:101 offset1:186
	ds_read2_b64 v[44:47], v0 offset0:133 offset1:218
	ds_read_b64 v[64:65], v112 offset:10064
                                        ; implicit-def: $vgpr66
                                        ; implicit-def: $vgpr68
                                        ; implicit-def: $vgpr70
	s_and_saveexec_b32 s1, s0
	s_cbranch_execz .LBB0_9
; %bb.8:
	ds_read_b64 v[60:61], v112 offset:2040
	ds_read_b64 v[62:63], v112 offset:4216
	;; [unrolled: 1-line block ×5, first 2 shown]
.LBB0_9:
	s_or_b32 exec_lo, exec_lo, s1
	v_and_b32_e32 v0, 0xff, v110
	v_add_nc_u16 v4, v110, 0xaa
	v_mov_b32_e32 v3, 5
	v_mov_b32_e32 v80, 0x55
	v_mul_lo_u16 v0, 0xf1, v0
	v_and_b32_e32 v5, 0xff, v4
	v_lshrrev_b16 v73, 12, v0
	v_add_nc_u16 v0, v110, 0x55
	v_mul_lo_u16 v5, 0xf1, v5
	v_mul_lo_u16 v1, v73, 17
	v_and_b32_e32 v2, 0xff, v0
	v_lshrrev_b16 v76, 12, v5
	v_mul_u32_u24_sdwa v73, v73, v80 dst_sel:DWORD dst_unused:UNUSED_PAD src0_sel:WORD_0 src1_sel:DWORD
	v_sub_nc_u16 v74, v110, v1
	v_mul_lo_u16 v1, 0xf1, v2
	v_add_nc_u32_e32 v2, 0xff, v110
	v_lshlrev_b32_sdwa v6, v3, v74 dst_sel:DWORD dst_unused:UNUSED_PAD src0_sel:DWORD src1_sel:BYTE_0
	v_lshrrev_b16 v75, 12, v1
	v_mov_b32_e32 v1, 0xf0f1
	v_add_nc_u32_sdwa v73, v73, v74 dst_sel:DWORD dst_unused:UNUSED_PAD src0_sel:DWORD src1_sel:BYTE_0
	global_load_dwordx4 v[28:31], v6, s[2:3]
	v_mul_lo_u16 v7, v75, 17
	v_mul_u32_u24_sdwa v1, v2, v1 dst_sel:DWORD dst_unused:UNUSED_PAD src0_sel:WORD_0 src1_sel:DWORD
	global_load_dwordx4 v[24:27], v6, s[2:3] offset:16
	v_mul_u32_u24_sdwa v74, v75, v80 dst_sel:DWORD dst_unused:UNUSED_PAD src0_sel:WORD_0 src1_sel:DWORD
	v_mul_u32_u24_sdwa v75, v76, v80 dst_sel:DWORD dst_unused:UNUSED_PAD src0_sel:WORD_0 src1_sel:DWORD
	v_sub_nc_u16 v77, v0, v7
	v_lshrrev_b32_e32 v0, 20, v1
	v_mul_lo_u16 v1, v76, 17
	v_add_lshl_u32 v117, v72, v73, 3
	v_lshlrev_b32_sdwa v5, v3, v77 dst_sel:DWORD dst_unused:UNUSED_PAD src0_sel:DWORD src1_sel:BYTE_0
	v_mul_lo_u16 v0, v0, 17
	v_sub_nc_u16 v78, v4, v1
	v_mov_b32_e32 v1, 3
	v_add_nc_u32_sdwa v73, v74, v77 dst_sel:DWORD dst_unused:UNUSED_PAD src0_sel:DWORD src1_sel:BYTE_0
	global_load_dwordx4 v[12:15], v5, s[2:3] offset:16
	v_sub_nc_u16 v79, v2, v0
	v_lshlrev_b32_sdwa v0, v3, v78 dst_sel:DWORD dst_unused:UNUSED_PAD src0_sel:DWORD src1_sel:BYTE_0
	global_load_dwordx4 v[20:23], v5, s[2:3]
	v_add_nc_u32_sdwa v74, v75, v78 dst_sel:DWORD dst_unused:UNUSED_PAD src0_sel:DWORD src1_sel:BYTE_0
	v_add_lshl_u32 v116, v72, v73, 3
	v_lshlrev_b16 v2, 2, v79
	global_load_dwordx4 v[16:19], v0, s[2:3]
	v_and_b32_e32 v114, 0xffff, v79
	v_add_lshl_u32 v115, v72, v74, 3
	v_lshlrev_b32_sdwa v1, v1, v2 dst_sel:DWORD dst_unused:UNUSED_PAD src0_sel:DWORD src1_sel:WORD_0
	s_clause 0x2
	global_load_dwordx4 v[8:11], v0, s[2:3] offset:16
	global_load_dwordx4 v[4:7], v1, s[2:3]
	global_load_dwordx4 v[0:3], v1, s[2:3] offset:16
	s_load_dwordx4 s[4:7], s[6:7], 0x0
	s_waitcnt vmcnt(0) lgkmcnt(0)
	s_barrier
	buffer_gl0_inv
	v_mul_f32_e32 v73, v39, v29
	v_mul_f32_e32 v74, v38, v29
	;; [unrolled: 1-line block ×8, first 2 shown]
	v_fma_f32 v73, v38, v28, -v73
	v_fmac_f32_e32 v74, v39, v28
	v_fma_f32 v56, v56, v30, -v75
	v_fmac_f32_e32 v76, v57, v30
	;; [unrolled: 2-line block ×4, first 2 shown]
	v_mul_f32_e32 v81, v45, v13
	v_mul_f32_e32 v82, v44, v13
	;; [unrolled: 1-line block ×12, first 2 shown]
	v_fma_f32 v48, v48, v20, -v52
	v_mul_f32_e32 v89, v47, v9
	v_mul_f32_e32 v90, v46, v9
	;; [unrolled: 1-line block ×12, first 2 shown]
	v_fmac_f32_e32 v53, v49, v20
	v_fma_f32 v52, v58, v22, -v77
	v_fmac_f32_e32 v79, v59, v22
	v_fma_f32 v58, v44, v12, -v81
	;; [unrolled: 2-line block ×11, first 2 shown]
	v_fmac_f32_e32 v38, v71, v2
	v_add_f32_e32 v46, v32, v73
	v_add_f32_e32 v47, v56, v57
	v_sub_f32_e32 v50, v73, v56
	v_sub_f32_e32 v51, v75, v57
	v_add_f32_e32 v55, v73, v75
	v_sub_f32_e32 v63, v56, v73
	v_sub_f32_e32 v64, v57, v75
	v_add_f32_e32 v65, v33, v74
	v_add_f32_e32 v66, v76, v78
	v_sub_f32_e32 v59, v74, v80
	v_sub_f32_e32 v67, v73, v75
	;; [unrolled: 1-line block ×5, first 2 shown]
	v_add_f32_e32 v71, v74, v80
	v_sub_f32_e32 v73, v76, v74
	v_sub_f32_e32 v74, v78, v80
	v_add_f32_e32 v56, v46, v56
	v_fma_f32 v46, -0.5, v47, v32
	v_add_f32_e32 v85, v50, v51
	v_fma_f32 v32, -0.5, v55, v32
	v_add_f32_e32 v87, v63, v64
	v_add_f32_e32 v51, v65, v76
	;; [unrolled: 1-line block ×6, first 2 shown]
	v_sub_f32_e32 v95, v53, v79
	v_sub_f32_e32 v96, v84, v82
	v_add_f32_e32 v97, v53, v84
	v_sub_f32_e32 v98, v79, v53
	v_sub_f32_e32 v99, v82, v84
	v_add_f32_e32 v128, v45, v41
	v_add_f32_e32 v133, v44, v40
	v_add_f32_e32 v136, v42, v39
	v_add_f32_e32 v141, v43, v38
	v_sub_f32_e32 v62, v76, v78
	v_fma_f32 v47, -0.5, v66, v33
	v_add_f32_e32 v66, v48, v77
	v_add_f32_e32 v70, v69, v70
	v_fma_f32 v33, -0.5, v71, v33
	v_add_f32_e32 v71, v73, v74
	v_sub_f32_e32 v73, v53, v84
	v_sub_f32_e32 v74, v79, v82
	;; [unrolled: 1-line block ×7, first 2 shown]
	v_add_f32_e32 v100, v36, v49
	v_add_f32_e32 v102, v54, v81
	;; [unrolled: 1-line block ×6, first 2 shown]
	v_sub_f32_e32 v129, v43, v38
	v_sub_f32_e32 v130, v42, v39
	;; [unrolled: 1-line block ×4, first 2 shown]
	v_add_f32_e32 v56, v56, v57
	v_fmamk_f32 v48, v59, 0x3f737871, v46
	v_fmac_f32_e32 v46, 0xbf737871, v59
	v_add_f32_e32 v57, v51, v78
	v_add_f32_e32 v78, v55, v52
	v_fma_f32 v52, -0.5, v63, v34
	v_add_f32_e32 v63, v89, v79
	v_fma_f32 v53, -0.5, v91, v35
	v_add_f32_e32 v79, v95, v96
	v_fmac_f32_e32 v35, -0.5, v97
	v_add_f32_e32 v89, v98, v99
	v_fma_f32 v95, -0.5, v128, v60
	v_fma_f32 v97, -0.5, v133, v60
	;; [unrolled: 1-line block ×4, first 2 shown]
	v_fmamk_f32 v50, v62, 0xbf737871, v32
	v_fmac_f32_e32 v32, 0x3f737871, v62
	v_sub_f32_e32 v65, v77, v58
	v_fma_f32 v34, -0.5, v66, v34
	v_sub_f32_e32 v103, v86, v93
	v_sub_f32_e32 v104, v88, v90
	;; [unrolled: 1-line block ×16, first 2 shown]
	v_fmamk_f32 v49, v67, 0xbf737871, v47
	v_fmac_f32_e32 v47, 0x3f737871, v67
	v_fmamk_f32 v51, v68, 0x3f737871, v33
	v_fmac_f32_e32 v33, 0xbf737871, v68
	v_add_f32_e32 v76, v69, v76
	v_add_f32_e32 v66, v100, v54
	v_fma_f32 v54, -0.5, v102, v36
	v_fma_f32 v36, -0.5, v113, v36
	v_add_f32_e32 v69, v120, v88
	v_fma_f32 v55, -0.5, v121, v37
	v_fmac_f32_e32 v37, -0.5, v126
	v_add_f32_e32 v56, v56, v75
	v_fmac_f32_e32 v48, 0x3f167918, v62
	v_fmac_f32_e32 v46, 0xbf167918, v62
	v_add_f32_e32 v75, v78, v58
	v_add_f32_e32 v78, v63, v82
	v_fmamk_f32 v62, v129, 0x3f737871, v95
	v_fmac_f32_e32 v95, 0xbf737871, v129
	v_fmamk_f32 v99, v130, 0xbf737871, v97
	v_fmac_f32_e32 v97, 0x3f737871, v130
	;; [unrolled: 2-line block ×4, first 2 shown]
	v_fmac_f32_e32 v50, 0x3f167918, v59
	v_fmac_f32_e32 v32, 0xbf167918, v59
	v_fmamk_f32 v58, v73, 0x3f737871, v52
	v_fmamk_f32 v59, v94, 0xbf737871, v53
	v_add_f32_e32 v144, v64, v65
	v_fmamk_f32 v64, v74, 0xbf737871, v34
	v_fmac_f32_e32 v34, 0x3f737871, v74
	v_fmamk_f32 v65, v101, 0x3f737871, v35
	v_fmac_f32_e32 v35, 0xbf737871, v101
	v_sub_f32_e32 v124, v86, v88
	v_sub_f32_e32 v125, v93, v90
	;; [unrolled: 1-line block ×4, first 2 shown]
	v_add_f32_e32 v91, v105, v106
	v_add_f32_e32 v102, v118, v119
	;; [unrolled: 1-line block ×7, first 2 shown]
	v_fmac_f32_e32 v49, 0xbf167918, v68
	v_fmac_f32_e32 v47, 0x3f167918, v68
	;; [unrolled: 1-line block ×6, first 2 shown]
	v_add_f32_e32 v80, v66, v81
	v_fmamk_f32 v66, v103, 0x3f737871, v54
	v_fmac_f32_e32 v54, 0xbf737871, v103
	v_fmamk_f32 v68, v104, 0xbf737871, v36
	v_fmac_f32_e32 v36, 0x3f737871, v104
	v_add_f32_e32 v81, v69, v90
	v_fmamk_f32 v67, v122, 0xbf737871, v55
	v_fmac_f32_e32 v55, 0x3f737871, v122
	v_fmamk_f32 v69, v123, 0x3f737871, v37
	v_fmac_f32_e32 v37, 0xbf737871, v123
	v_fmac_f32_e32 v62, 0x3f167918, v130
	v_fmac_f32_e32 v95, 0xbf167918, v130
	v_fmac_f32_e32 v99, 0x3f167918, v129
	v_fmac_f32_e32 v97, 0xbf167918, v129
	v_fmac_f32_e32 v63, 0xbf167918, v138
	v_fmac_f32_e32 v96, 0x3f167918, v138
	v_fmac_f32_e32 v100, 0xbf167918, v137
	v_fmac_f32_e32 v98, 0x3f167918, v137
	v_fmac_f32_e32 v58, 0x3f167918, v74
	v_fmac_f32_e32 v59, 0xbf167918, v101
	v_fmac_f32_e32 v64, 0x3f167918, v73
	v_fmac_f32_e32 v34, 0xbf167918, v73
	v_fmac_f32_e32 v65, 0xbf167918, v94
	v_fmac_f32_e32 v35, 0x3f167918, v94
	v_add_f32_e32 v88, v124, v125
	v_add_f32_e32 v86, v86, v127
	v_fmac_f32_e32 v48, 0x3e9e377a, v85
	v_fmac_f32_e32 v49, 0x3e9e377a, v70
	;; [unrolled: 1-line block ×26, first 2 shown]
	v_add_f32_e32 v70, v75, v77
	v_add_f32_e32 v71, v78, v84
	v_fmac_f32_e32 v58, 0x3e9e377a, v144
	v_fmac_f32_e32 v59, 0x3e9e377a, v79
	;; [unrolled: 1-line block ×6, first 2 shown]
	v_add_f32_e32 v73, v80, v83
	v_add_f32_e32 v74, v81, v93
	v_fmac_f32_e32 v52, 0x3e9e377a, v144
	v_fmac_f32_e32 v53, 0x3e9e377a, v79
	;; [unrolled: 1-line block ×10, first 2 shown]
	ds_write2_b64 v117, v[56:57], v[48:49] offset1:17
	ds_write2_b64 v117, v[50:51], v[32:33] offset0:34 offset1:51
	ds_write_b64 v117, v[46:47] offset:544
	ds_write2_b64 v116, v[70:71], v[58:59] offset1:17
	ds_write2_b64 v116, v[64:65], v[34:35] offset0:34 offset1:51
	ds_write_b64 v116, v[52:53] offset:544
	;; [unrolled: 3-line block ×3, first 2 shown]
	s_and_saveexec_b32 s1, s0
	s_cbranch_execz .LBB0_11
; %bb.10:
	v_add_f32_e32 v32, v61, v43
	v_add_f32_e32 v33, v60, v44
	v_add_lshl_u32 v34, v72, v114, 3
	v_add_f32_e32 v32, v32, v42
	v_add_f32_e32 v33, v33, v45
	v_add_nc_u32_e32 v37, 0x2800, v34
	v_add_nc_u32_e32 v36, 0x2400, v34
	v_add_f32_e32 v32, v32, v39
	v_add_f32_e32 v35, v33, v41
	;; [unrolled: 1-line block ×4, first 2 shown]
	ds_write2_b64 v37, v[99:100], v[97:98] offset0:29 offset1:46
	ds_write2_b64 v36, v[32:33], v[62:63] offset0:123 offset1:140
	ds_write_b64 v34, v[95:96] offset:10744
.LBB0_11:
	s_or_b32 exec_lo, exec_lo, s1
	v_mad_u64_u32 v[60:61], null, 0x78, v110, s[2:3]
	s_waitcnt lgkmcnt(0)
	s_barrier
	buffer_gl0_inv
	v_add_nc_u32_e32 v68, 0x400, v112
	v_add_nc_u32_e32 v76, 0x1000, v112
	;; [unrolled: 1-line block ×3, first 2 shown]
	s_clause 0x7
	global_load_dwordx4 v[56:59], v[60:61], off offset:544
	global_load_dwordx4 v[48:51], v[60:61], off offset:560
	;; [unrolled: 1-line block ×7, first 2 shown]
	global_load_dwordx2 v[93:94], v[60:61], off offset:656
	v_add_nc_u32_e32 v80, 0x1400, v112
	v_add_nc_u32_e32 v84, 0x1800, v112
	;; [unrolled: 1-line block ×3, first 2 shown]
	ds_read2_b64 v[64:67], v112 offset1:85
	ds_read_b64 v[60:61], v112 offset:1360
	ds_read2_b64 v[68:71], v68 offset0:127 offset1:212
	ds_read_b64 v[105:106], v112 offset:10200
	ds_read2_b64 v[72:75], v72 offset0:169 offset1:254
	ds_read2_b64 v[76:79], v76 offset0:83 offset1:168
	;; [unrolled: 1-line block ×5, first 2 shown]
	v_lshl_add_u32 v113, v110, 3, v111
	v_add_nc_u32_e32 v101, 0x400, v113
	v_add_nc_u32_e32 v102, 0x800, v113
	;; [unrolled: 1-line block ×6, first 2 shown]
	s_waitcnt vmcnt(7) lgkmcnt(8)
	v_mul_f32_e32 v120, v67, v57
	v_mul_f32_e32 v121, v66, v57
	s_waitcnt lgkmcnt(7)
	v_mul_f32_e32 v122, v61, v59
	v_mul_f32_e32 v123, v60, v59
	s_waitcnt vmcnt(6) lgkmcnt(6)
	v_mul_f32_e32 v124, v69, v49
	v_mul_f32_e32 v125, v68, v49
	v_mul_f32_e32 v126, v71, v51
	v_mul_f32_e32 v127, v70, v51
	s_waitcnt vmcnt(5) lgkmcnt(4)
	v_mul_f32_e32 v128, v73, v41
	v_mul_f32_e32 v129, v72, v41
	;; [unrolled: 5-line block ×6, first 2 shown]
	v_mul_f32_e32 v146, v91, v39
	v_mul_f32_e32 v147, v90, v39
	s_waitcnt vmcnt(0)
	v_mul_f32_e32 v148, v106, v94
	v_mul_f32_e32 v149, v105, v94
	v_fma_f32 v66, v66, v56, -v120
	v_fmac_f32_e32 v121, v67, v56
	v_fma_f32 v60, v60, v58, -v122
	v_fmac_f32_e32 v123, v61, v58
	;; [unrolled: 2-line block ×15, first 2 shown]
	v_sub_f32_e32 v71, v64, v71
	v_sub_f32_e32 v79, v65, v135
	;; [unrolled: 1-line block ×16, first 2 shown]
	v_fma_f32 v67, v67, 2.0, -v75
	v_fma_f32 v87, v127, 2.0, -v80
	;; [unrolled: 1-line block ×12, first 2 shown]
	v_sub_f32_e32 v80, v71, v80
	v_add_f32_e32 v75, v79, v75
	v_sub_f32_e32 v82, v73, v82
	v_add_f32_e32 v77, v81, v77
	;; [unrolled: 2-line block ×4, first 2 shown]
	v_fma_f32 v64, v64, 2.0, -v71
	v_fma_f32 v65, v65, 2.0, -v79
	;; [unrolled: 1-line block ×8, first 2 shown]
	v_sub_f32_e32 v68, v66, v68
	v_sub_f32_e32 v91, v90, v91
	v_fma_f32 v72, v72, 2.0, -v84
	v_fma_f32 v83, v83, 2.0, -v76
	v_sub_f32_e32 v70, v61, v70
	v_sub_f32_e32 v106, v105, v106
	v_fma_f32 v74, v74, 2.0, -v86
	v_fma_f32 v85, v85, 2.0, -v78
	v_fmamk_f32 v120, v82, 0x3f3504f3, v80
	v_sub_f32_e32 v67, v64, v67
	v_sub_f32_e32 v87, v65, v87
	;; [unrolled: 1-line block ×4, first 2 shown]
	v_fmamk_f32 v121, v77, 0x3f3504f3, v75
	v_fmamk_f32 v122, v86, 0x3f3504f3, v84
	;; [unrolled: 1-line block ×3, first 2 shown]
	v_fma_f32 v124, v66, 2.0, -v68
	v_fma_f32 v90, v90, 2.0, -v91
	v_fma_f32 v61, v61, 2.0, -v70
	v_fma_f32 v66, v105, 2.0, -v106
	v_fmamk_f32 v125, v73, 0xbf3504f3, v71
	v_fmamk_f32 v126, v81, 0xbf3504f3, v79
	v_fmac_f32_e32 v120, 0xbf3504f3, v77
	v_fmamk_f32 v77, v74, 0xbf3504f3, v72
	v_fmamk_f32 v127, v85, 0xbf3504f3, v83
	v_fma_f32 v64, v64, 2.0, -v67
	v_fma_f32 v65, v65, 2.0, -v87
	;; [unrolled: 1-line block ×4, first 2 shown]
	v_sub_f32_e32 v89, v67, v89
	v_add_f32_e32 v105, v87, v69
	v_fmac_f32_e32 v121, 0x3f3504f3, v82
	v_sub_f32_e32 v82, v68, v106
	v_add_f32_e32 v106, v91, v70
	v_fmac_f32_e32 v122, 0xbf3504f3, v78
	v_fmac_f32_e32 v123, 0x3f3504f3, v86
	;; [unrolled: 1-line block ×4, first 2 shown]
	v_sub_f32_e32 v73, v124, v61
	v_sub_f32_e32 v70, v90, v66
	v_fmac_f32_e32 v77, 0xbf3504f3, v85
	v_fmac_f32_e32 v127, 0x3f3504f3, v74
	v_sub_f32_e32 v78, v64, v60
	v_sub_f32_e32 v88, v65, v88
	v_fma_f32 v81, v67, 2.0, -v89
	v_fma_f32 v128, v87, 2.0, -v105
	;; [unrolled: 1-line block ×14, first 2 shown]
	v_fmamk_f32 v66, v82, 0x3f3504f3, v89
	v_fmamk_f32 v67, v106, 0x3f3504f3, v105
	;; [unrolled: 1-line block ×4, first 2 shown]
	v_fma_f32 v130, v64, 2.0, -v78
	v_fma_f32 v131, v65, 2.0, -v88
	v_fmamk_f32 v74, v85, 0xbf3504f3, v81
	v_fmamk_f32 v75, v91, 0xbf3504f3, v128
	v_fmamk_f32 v68, v84, 0xbec3ef15, v80
	v_fmamk_f32 v69, v76, 0xbec3ef15, v129
	v_add_f32_e32 v71, v88, v73
	v_fmamk_f32 v64, v77, 0x3ec3ef15, v125
	v_fmamk_f32 v65, v127, 0x3ec3ef15, v126
	;; [unrolled: 1-line block ×4, first 2 shown]
	v_sub_f32_e32 v70, v78, v70
	v_fmac_f32_e32 v66, 0xbf3504f3, v106
	v_fmac_f32_e32 v67, 0x3f3504f3, v82
	;; [unrolled: 1-line block ×4, first 2 shown]
	v_sub_f32_e32 v86, v130, v79
	v_sub_f32_e32 v87, v131, v87
	v_fmac_f32_e32 v74, 0xbf3504f3, v91
	v_fmac_f32_e32 v75, 0x3f3504f3, v85
	;; [unrolled: 1-line block ×8, first 2 shown]
	v_fma_f32 v82, v78, 2.0, -v70
	v_fma_f32 v83, v88, 2.0, -v71
	;; [unrolled: 1-line block ×16, first 2 shown]
	ds_write_b64 v113, v[60:61] offset:10200
	ds_write_b64 v113, v[105:106]
	ds_write2_b64 v101, v[80:81], v[82:83] offset0:127 offset1:212
	ds_write2_b64 v102, v[76:77], v[78:79] offset0:169 offset1:254
	;; [unrolled: 1-line block ×7, first 2 shown]
	s_waitcnt lgkmcnt(0)
	s_barrier
	buffer_gl0_inv
	s_and_saveexec_b32 s8, vcc_lo
	s_cbranch_execz .LBB0_13
; %bb.12:
	s_add_u32 s2, s12, 0x2a80
	s_addc_u32 s3, s13, 0
	v_add_co_u32 v128, s1, s2, v109
	global_load_dwordx2 v[120:121], v109, s[2:3]
	v_add_co_ci_u32_e64 v129, null, s3, 0, s1
	v_add_co_u32 v122, s1, 0x800, v128
	v_or_b32_e32 v130, 0x1400, v109
	v_add_co_ci_u32_e64 v123, s1, 0, v129, s1
	v_add_co_u32 v124, s1, 0x1000, v128
	v_add_co_ci_u32_e64 v125, s1, 0, v129, s1
	v_add_co_u32 v126, s1, 0x1800, v128
	v_add_co_ci_u32_e64 v127, s1, 0, v129, s1
	s_clause 0xa
	global_load_dwordx2 v[152:153], v109, s[2:3] offset:640
	global_load_dwordx2 v[154:155], v109, s[2:3] offset:1280
	;; [unrolled: 1-line block ×3, first 2 shown]
	global_load_dwordx2 v[158:159], v[122:123], off offset:512
	global_load_dwordx2 v[160:161], v[122:123], off offset:1152
	;; [unrolled: 1-line block ×6, first 2 shown]
	global_load_dwordx2 v[170:171], v130, s[2:3]
	global_load_dwordx2 v[172:173], v[124:125], off offset:1664
	v_add_co_u32 v122, s1, 0x2000, v128
	v_add_co_ci_u32_e64 v123, s1, 0, v129, s1
	v_or_b32_e32 v124, 0x2800, v109
	s_clause 0x4
	global_load_dwordx2 v[174:175], v[126:127], off offset:1536
	global_load_dwordx2 v[176:177], v[122:123], off offset:128
	;; [unrolled: 1-line block ×4, first 2 shown]
	global_load_dwordx2 v[182:183], v124, s[2:3]
	ds_read_b64 v[122:123], v113
	v_add_nc_u32_e32 v185, 0x2400, v113
	s_waitcnt vmcnt(16) lgkmcnt(0)
	v_mul_f32_e32 v124, v123, v121
	v_mul_f32_e32 v125, v122, v121
	v_fma_f32 v124, v122, v120, -v124
	v_fmac_f32_e32 v125, v123, v120
	ds_write_b64 v113, v[124:125]
	ds_read2_b64 v[120:123], v113 offset0:80 offset1:160
	ds_read2_b64 v[124:127], v101 offset0:112 offset1:192
	;; [unrolled: 1-line block ×8, first 2 shown]
	s_waitcnt vmcnt(15) lgkmcnt(7)
	v_mul_f32_e32 v186, v121, v153
	v_mul_f32_e32 v184, v120, v153
	s_waitcnt vmcnt(14)
	v_mul_f32_e32 v187, v123, v155
	v_mul_f32_e32 v153, v122, v155
	s_waitcnt vmcnt(13) lgkmcnt(6)
	v_mul_f32_e32 v188, v125, v157
	v_mul_f32_e32 v155, v124, v157
	s_waitcnt vmcnt(12)
	v_mul_f32_e32 v189, v127, v159
	v_mul_f32_e32 v157, v126, v159
	;; [unrolled: 6-line block ×4, first 2 shown]
	s_waitcnt vmcnt(5) lgkmcnt(3)
	v_mul_f32_e32 v194, v137, v173
	v_mul_f32_e32 v171, v136, v173
	;; [unrolled: 1-line block ×4, first 2 shown]
	s_waitcnt lgkmcnt(2)
	v_mul_f32_e32 v196, v141, v169
	v_mul_f32_e32 v167, v140, v169
	s_waitcnt vmcnt(4)
	v_mul_f32_e32 v197, v143, v175
	v_mul_f32_e32 v169, v142, v175
	s_waitcnt vmcnt(3) lgkmcnt(1)
	v_mul_f32_e32 v198, v145, v177
	v_mul_f32_e32 v175, v144, v177
	s_waitcnt vmcnt(2)
	v_mul_f32_e32 v199, v147, v179
	v_mul_f32_e32 v177, v146, v179
	s_waitcnt vmcnt(1) lgkmcnt(0)
	v_mul_f32_e32 v200, v149, v181
	v_mul_f32_e32 v179, v148, v181
	s_waitcnt vmcnt(0)
	v_mul_f32_e32 v201, v151, v183
	v_mul_f32_e32 v181, v150, v183
	v_fma_f32 v183, v120, v152, -v186
	v_fmac_f32_e32 v184, v121, v152
	v_fma_f32 v152, v122, v154, -v187
	v_fmac_f32_e32 v153, v123, v154
	;; [unrolled: 2-line block ×16, first 2 shown]
	ds_write2_b64 v113, v[183:184], v[152:153] offset0:80 offset1:160
	ds_write2_b64 v101, v[154:155], v[156:157] offset0:112 offset1:192
	;; [unrolled: 1-line block ×8, first 2 shown]
.LBB0_13:
	s_or_b32 exec_lo, exec_lo, s8
	s_waitcnt lgkmcnt(0)
	s_barrier
	buffer_gl0_inv
	s_and_saveexec_b32 s1, vcc_lo
	s_cbranch_execz .LBB0_15
; %bb.14:
	v_add_nc_u32_e32 v60, 0x400, v113
	v_add_nc_u32_e32 v61, 0x800, v113
	v_add_nc_u32_e32 v62, 0x1800, v113
	ds_read_b64 v[105:106], v113
	ds_read2_b64 v[88:91], v113 offset0:80 offset1:160
	ds_read2_b64 v[80:83], v60 offset0:112 offset1:192
	;; [unrolled: 1-line block ×3, first 2 shown]
	v_add_nc_u32_e32 v60, 0x1000, v113
	v_add_nc_u32_e32 v61, 0x1400, v113
	;; [unrolled: 1-line block ×4, first 2 shown]
	ds_read2_b64 v[84:87], v60 offset0:48 offset1:128
	ds_read2_b64 v[72:75], v61 offset0:80 offset1:160
	;; [unrolled: 1-line block ×5, first 2 shown]
.LBB0_15:
	s_or_b32 exec_lo, exec_lo, s1
	s_waitcnt lgkmcnt(0)
	v_sub_f32_e32 v174, v89, v63
	v_add_f32_e32 v157, v63, v89
	v_add_f32_e32 v153, v62, v88
	v_sub_f32_e32 v175, v91, v61
	v_sub_f32_e32 v155, v88, v62
	v_mul_f32_e32 v168, 0xbeb8f4ab, v174
	v_mul_f32_e32 v154, 0x3f6eb680, v157
	v_add_f32_e32 v118, v60, v90
	v_add_f32_e32 v137, v61, v91
	v_mul_f32_e32 v129, 0xbf2c7751, v175
	v_fma_f32 v101, 0x3f6eb680, v153, -v168
	v_sub_f32_e32 v176, v81, v67
	v_fmamk_f32 v102, v155, 0xbeb8f4ab, v154
	v_mul_f32_e32 v132, 0xbf2c7751, v174
	v_mul_f32_e32 v138, 0x3f3d2fb0, v157
	v_add_f32_e32 v101, v105, v101
	v_fma_f32 v120, 0x3f3d2fb0, v118, -v129
	v_sub_f32_e32 v122, v90, v60
	v_mul_f32_e32 v152, 0x3f3d2fb0, v137
	v_add_f32_e32 v121, v66, v80
	v_mul_f32_e32 v134, 0xbf65296c, v176
	v_add_f32_e32 v149, v67, v81
	v_add_f32_e32 v102, v106, v102
	v_fma_f32 v103, 0x3f3d2fb0, v153, -v132
	v_fmamk_f32 v104, v155, 0xbf2c7751, v138
	v_add_f32_e32 v101, v120, v101
	v_fmamk_f32 v124, v122, 0xbf2c7751, v152
	v_mul_f32_e32 v162, 0xbf7ee86f, v175
	v_mul_f32_e32 v163, 0x3dbcf732, v137
	v_fma_f32 v128, 0x3ee437d1, v121, -v134
	v_sub_f32_e32 v127, v80, v66
	v_mul_f32_e32 v156, 0x3ee437d1, v149
	v_add_f32_e32 v103, v105, v103
	v_add_f32_e32 v104, v106, v104
	;; [unrolled: 1-line block ×3, first 2 shown]
	v_fma_f32 v124, 0x3dbcf732, v118, -v162
	v_fmamk_f32 v126, v122, 0xbf7ee86f, v163
	v_add_f32_e32 v101, v128, v101
	v_sub_f32_e32 v177, v83, v65
	v_fmamk_f32 v128, v127, 0xbf65296c, v156
	v_mul_f32_e32 v164, 0xbf4c4adb, v176
	v_mul_f32_e32 v167, 0xbf1a4643, v149
	v_add_f32_e32 v103, v124, v103
	v_add_f32_e32 v104, v126, v104
	;; [unrolled: 1-line block ×3, first 2 shown]
	v_mul_f32_e32 v124, 0xbf7ee86f, v177
	v_add_f32_e32 v102, v128, v102
	v_add_f32_e32 v160, v65, v83
	v_fma_f32 v128, 0xbf1a4643, v121, -v164
	v_fmamk_f32 v130, v127, 0xbf4c4adb, v167
	v_sub_f32_e32 v178, v77, v71
	v_fma_f32 v133, 0x3dbcf732, v126, -v124
	v_sub_f32_e32 v131, v82, v64
	v_mul_f32_e32 v159, 0x3dbcf732, v160
	v_add_f32_e32 v103, v128, v103
	v_add_f32_e32 v104, v130, v104
	v_mul_f32_e32 v165, 0xbe3c28d5, v177
	v_mul_f32_e32 v146, 0xbf7ba420, v160
	v_add_f32_e32 v130, v70, v76
	v_mul_f32_e32 v128, 0xbf763a35, v178
	v_add_f32_e32 v166, v71, v77
	v_add_f32_e32 v101, v133, v101
	v_fmamk_f32 v133, v131, 0xbf7ee86f, v159
	v_fma_f32 v135, 0xbf7ba420, v126, -v165
	v_fmamk_f32 v139, v131, 0xbe3c28d5, v146
	v_sub_f32_e32 v136, v76, v70
	v_fma_f32 v140, 0xbe8c1d8e, v130, -v128
	v_mul_f32_e32 v161, 0xbe8c1d8e, v166
	v_sub_f32_e32 v179, v79, v69
	v_add_f32_e32 v170, v69, v79
	v_add_f32_e32 v102, v133, v102
	;; [unrolled: 1-line block ×5, first 2 shown]
	v_fmamk_f32 v140, v136, 0xbf763a35, v161
	v_mul_f32_e32 v169, 0x3f06c442, v178
	v_mul_f32_e32 v123, 0xbf59a7d5, v166
	v_add_f32_e32 v135, v68, v78
	v_mul_f32_e32 v133, 0xbf4c4adb, v179
	v_sub_f32_e32 v142, v78, v68
	v_mul_f32_e32 v139, 0xbf1a4643, v170
	v_fma_f32 v143, 0xbf59a7d5, v130, -v169
	v_fmamk_f32 v144, v136, 0x3f06c442, v123
	v_fma_f32 v145, 0xbf1a4643, v135, -v133
	v_add_f32_e32 v102, v140, v102
	v_fmamk_f32 v140, v142, 0xbf4c4adb, v139
	v_mul_f32_e32 v171, 0x3f763a35, v179
	v_sub_f32_e32 v180, v85, v75
	v_add_f32_e32 v172, v75, v85
	v_add_f32_e32 v103, v143, v103
	;; [unrolled: 1-line block ×5, first 2 shown]
	v_mul_f32_e32 v119, 0xbe8c1d8e, v170
	v_fma_f32 v144, 0xbe8c1d8e, v135, -v171
	v_add_f32_e32 v143, v74, v84
	v_mul_f32_e32 v140, 0xbf06c442, v180
	v_sub_f32_e32 v148, v84, v74
	v_mul_f32_e32 v145, 0xbf59a7d5, v172
	v_mul_f32_e32 v125, 0x3f65296c, v180
	v_fmamk_f32 v147, v142, 0x3f763a35, v119
	v_fma_f32 v150, 0xbf59a7d5, v143, -v140
	v_add_f32_e32 v103, v144, v103
	v_fmamk_f32 v144, v148, 0xbf06c442, v145
	v_fma_f32 v151, 0x3ee437d1, v143, -v125
	v_mul_f32_e32 v141, 0x3ee437d1, v172
	v_sub_f32_e32 v181, v87, v73
	v_add_f32_e32 v173, v73, v87
	v_add_f32_e32 v104, v147, v104
	;; [unrolled: 1-line block ×5, first 2 shown]
	v_fmamk_f32 v103, v148, 0x3f65296c, v141
	v_add_f32_e32 v150, v72, v86
	v_sub_f32_e32 v151, v86, v72
	v_mul_f32_e32 v144, 0xbe3c28d5, v181
	v_mul_f32_e32 v147, 0xbf7ba420, v173
	;; [unrolled: 1-line block ×4, first 2 shown]
	v_add_f32_e32 v183, v103, v104
	v_fma_f32 v103, 0xbf7ba420, v150, -v144
	v_fmamk_f32 v104, v151, 0xbe3c28d5, v147
	v_fma_f32 v184, 0x3f6eb680, v150, -v158
	v_fmamk_f32 v185, v151, 0x3eb8f4ab, v120
	v_add_f32_e32 v103, v103, v101
	v_add_f32_e32 v104, v104, v102
	;; [unrolled: 1-line block ×4, first 2 shown]
	s_barrier
	buffer_gl0_inv
	s_and_saveexec_b32 s1, vcc_lo
	s_cbranch_execz .LBB0_17
; %bb.16:
	v_add_f32_e32 v89, v89, v106
	v_add_f32_e32 v88, v88, v105
	v_mul_f32_e32 v182, 0x3f2c7751, v178
	v_mul_f32_e32 v183, 0xbeb8f4ab, v142
	v_mul_f32_e32 v184, 0xbf7ee86f, v148
	v_add_f32_e32 v89, v91, v89
	v_add_f32_e32 v88, v90, v88
	v_mul_f32_e32 v90, 0x3f763a35, v177
	v_mul_f32_e32 v91, 0x3f2c7751, v136
	v_mul_f32_e32 v185, 0xbeb8f4ab, v179
	;; [unrolled: 5-line block ×11, first 2 shown]
	v_add_f32_e32 v69, v71, v69
	v_add_f32_e32 v68, v70, v68
	v_fma_f32 v70, 0xbf7ba420, v118, -v196
	v_mul_f32_e32 v204, 0x3f2c7751, v127
	v_fmamk_f32 v72, v137, 0xbf59a7d5, v82
	v_add_f32_e32 v65, v65, v69
	v_add_f32_e32 v64, v64, v68
	v_mul_f32_e32 v205, 0xbf65296c, v131
	v_mul_f32_e32 v206, 0xbe3c28d5, v136
	;; [unrolled: 1-line block ×3, first 2 shown]
	v_add_f32_e32 v65, v67, v65
	v_add_f32_e32 v69, v66, v64
	v_fmamk_f32 v64, v157, 0x3ee437d1, v83
	v_fma_f32 v66, 0xbf1a4643, v118, -v86
	v_fmamk_f32 v67, v137, 0xbf7ba420, v190
	buffer_store_dword v65, off, s[16:19], 0 ; 4-byte Folded Spill
	v_fmamk_f32 v65, v137, 0xbf1a4643, v84
	v_add_f32_e32 v64, v106, v64
	v_mul_f32_e32 v208, 0xbf763a35, v174
	v_mul_f32_e32 v209, 0x3f06c442, v175
	;; [unrolled: 1-line block ×4, first 2 shown]
	v_add_f32_e32 v64, v65, v64
	v_fma_f32 v65, 0x3ee437d1, v153, -v85
	v_fma_f32 v73, 0xbf59a7d5, v118, -v209
	v_mul_f32_e32 v212, 0xbf65296c, v177
	v_mul_f32_e32 v213, 0xbe3c28d5, v178
	;; [unrolled: 1-line block ×3, first 2 shown]
	v_add_f32_e32 v65, v105, v65
	v_mul_f32_e32 v215, 0xbeb8f4ab, v180
	v_mul_f32_e32 v216, 0xbf4c4adb, v151
	;; [unrolled: 1-line block ×4, first 2 shown]
	v_add_f32_e32 v65, v66, v65
	v_fmamk_f32 v66, v149, 0xbf7ba420, v87
	v_mul_f32_e32 v219, 0x3f763a35, v122
	v_mul_f32_e32 v220, 0xbeb8f4ab, v127
	v_mul_f32_e32 v221, 0xbf06c442, v131
	v_mul_f32_e32 v222, 0x3f7ee86f, v136
	v_add_f32_e32 v64, v66, v64
	v_fma_f32 v66, 0xbf7ba420, v121, -v88
	v_fmamk_f32 v74, v137, 0xbe8c1d8e, v219
	v_mul_f32_e32 v223, 0xbf2c7751, v142
	v_mul_f32_e32 v224, 0xbf4c4adb, v174
	v_mul_f32_e32 v225, 0x3f763a35, v175
	v_add_f32_e32 v65, v66, v65
	v_fmamk_f32 v66, v160, 0xbe8c1d8e, v89
	v_mul_f32_e32 v226, 0xbe3c28d5, v148
	v_mul_f32_e32 v227, 0xbeb8f4ab, v176
	v_fma_f32 v75, 0xbe8c1d8e, v118, -v225
	v_mul_f32_e32 v228, 0xbf06c442, v177
	v_add_f32_e32 v64, v66, v64
	v_fma_f32 v66, 0xbe8c1d8e, v126, -v90
	v_mul_f32_e32 v229, 0x3f7ee86f, v178
	v_mul_f32_e32 v230, 0xbf2c7751, v179
	;; [unrolled: 1-line block ×4, first 2 shown]
	v_add_f32_e32 v65, v66, v65
	v_fmamk_f32 v66, v166, 0x3f3d2fb0, v91
	v_mul_f32_e32 v233, 0x3f65296c, v181
	v_mul_f32_e32 v79, 0xbf06c442, v155
	v_mul_f32_e32 v80, 0x3f65296c, v122
	v_mul_f32_e32 v234, 0xbf7ee86f, v127
	v_add_f32_e32 v64, v66, v64
	v_fma_f32 v66, 0x3f3d2fb0, v130, -v182
	v_mul_f32_e32 v235, 0x3f4c4adb, v131
	v_fmamk_f32 v76, v137, 0x3ee437d1, v80
	v_mul_f32_e32 v236, 0xbeb8f4ab, v136
	v_mul_f32_e32 v237, 0xbe3c28d5, v142
	v_add_f32_e32 v65, v66, v65
	v_fmamk_f32 v66, v170, 0x3f6eb680, v183
	v_mul_f32_e32 v238, 0xbf06c442, v174
	v_mul_f32_e32 v239, 0x3f65296c, v175
	;; [unrolled: 1-line block ×4, first 2 shown]
	v_add_f32_e32 v64, v66, v64
	v_fmamk_f32 v66, v172, 0x3dbcf732, v184
	v_fma_f32 v77, 0x3ee437d1, v118, -v239
	v_mul_f32_e32 v242, 0x3f4c4adb, v177
	v_mul_f32_e32 v243, 0xbeb8f4ab, v178
	;; [unrolled: 1-line block ×3, first 2 shown]
	v_add_f32_e32 v64, v66, v64
	v_fma_f32 v66, 0x3f6eb680, v135, -v185
	v_fma_f32 v83, 0x3ee437d1, v157, -v83
	v_mul_f32_e32 v245, 0x3f2c7751, v180
	v_fma_f32 v84, 0xbf1a4643, v137, -v84
	v_mul_f32_e32 v246, 0xbf763a35, v151
	v_add_f32_e32 v65, v66, v65
	v_fma_f32 v66, 0x3dbcf732, v143, -v186
	v_add_f32_e32 v83, v106, v83
	v_mul_f32_e32 v247, 0xbf763a35, v181
	v_fmac_f32_e32 v85, 0x3ee437d1, v153
	v_mul_f32_e32 v248, 0xbe3c28d5, v155
	v_add_f32_e32 v66, v66, v65
	v_fmamk_f32 v65, v173, 0xbf59a7d5, v187
	v_add_f32_e32 v83, v84, v83
	v_fma_f32 v84, 0xbf7ba420, v149, -v87
	v_fmac_f32_e32 v86, 0xbf1a4643, v118
	v_mul_f32_e32 v249, 0x3eb8f4ab, v122
	v_add_f32_e32 v65, v65, v64
	v_fma_f32 v64, 0xbf59a7d5, v150, -v188
	v_add_f32_e32 v83, v84, v83
	v_fma_f32 v84, 0xbe8c1d8e, v160, -v89
	v_fmac_f32_e32 v88, 0xbf7ba420, v121
	v_fmamk_f32 v78, v137, 0x3f6eb680, v249
	v_add_f32_e32 v64, v64, v66
	v_fmamk_f32 v66, v157, 0x3dbcf732, v189
	v_add_f32_e32 v83, v84, v83
	v_add_f32_e32 v84, v105, v85
	v_mul_f32_e32 v250, 0xbf06c442, v127
	v_fmac_f32_e32 v90, 0xbe8c1d8e, v126
	v_add_f32_e32 v66, v106, v66
	v_mul_f32_e32 v251, 0x3f2c7751, v131
	v_add_f32_e32 v84, v86, v84
	v_fma_f32 v85, 0x3f3d2fb0, v166, -v91
	v_fmac_f32_e32 v182, 0x3f3d2fb0, v130
	v_add_f32_e32 v66, v67, v66
	v_fmamk_f32 v67, v149, 0xbe8c1d8e, v191
	v_add_f32_e32 v84, v88, v84
	v_mul_f32_e32 v252, 0xbf4c4adb, v136
	v_add_f32_e32 v83, v85, v83
	v_fma_f32 v85, 0x3f6eb680, v170, -v183
	v_add_f32_e32 v66, v67, v66
	v_fmamk_f32 v67, v160, 0x3f6eb680, v192
	v_add_f32_e32 v84, v90, v84
	v_fmac_f32_e32 v185, 0x3f6eb680, v135
	v_mul_f32_e32 v253, 0x3f65296c, v142
	v_fma_f32 v80, 0x3ee437d1, v137, -v80
	v_add_f32_e32 v66, v67, v66
	v_fmamk_f32 v67, v166, 0x3ee437d1, v193
	v_add_f32_e32 v84, v182, v84
	v_add_f32_e32 v83, v85, v83
	v_fma_f32 v85, 0x3dbcf732, v172, -v184
	v_fmac_f32_e32 v186, 0x3dbcf732, v143
	v_add_f32_e32 v66, v67, v66
	v_fmamk_f32 v67, v170, 0xbf59a7d5, v194
	v_add_f32_e32 v84, v185, v84
	v_mul_f32_e32 v174, 0xbe3c28d5, v174
	v_fma_f32 v82, 0xbf59a7d5, v137, -v82
	v_add_f32_e32 v83, v85, v83
	v_add_f32_e32 v66, v67, v66
	v_fma_f32 v67, 0x3dbcf732, v153, -v195
	v_add_f32_e32 v85, v186, v84
	v_fma_f32 v84, 0xbf59a7d5, v173, -v187
	v_fmac_f32_e32 v188, 0xbf59a7d5, v150
	v_mul_f32_e32 v89, 0x3f3d2fb0, v153
	v_add_f32_e32 v67, v105, v67
	v_mul_f32_e32 v91, 0x3f6eb680, v153
	v_add_f32_e32 v84, v84, v83
	v_add_f32_e32 v83, v188, v85
	v_fma_f32 v85, 0xbf7ba420, v157, -v248
	v_add_f32_e32 v67, v70, v67
	v_fmamk_f32 v70, v172, 0xbf1a4643, v197
	v_add_f32_e32 v89, v89, v132
	v_mul_f32_e32 v90, 0xbeb8f4ab, v155
	v_fmac_f32_e32 v195, 0x3dbcf732, v153
	v_add_f32_e32 v91, v91, v168
	v_add_f32_e32 v66, v70, v66
	v_fma_f32 v70, 0xbe8c1d8e, v121, -v198
	v_mul_f32_e32 v175, 0x3eb8f4ab, v175
	v_mul_f32_e32 v88, 0xbf2c7751, v155
	v_sub_f32_e32 v90, v154, v90
	v_add_f32_e32 v85, v106, v85
	v_add_f32_e32 v67, v70, v67
	v_fma_f32 v70, 0x3f6eb680, v126, -v199
	v_add_f32_e32 v155, v105, v195
	v_add_f32_e32 v89, v105, v89
	;; [unrolled: 1-line block ×3, first 2 shown]
	v_fma_f32 v254, 0x3f6eb680, v118, -v175
	v_add_f32_e32 v67, v70, v67
	v_fma_f32 v70, 0x3ee437d1, v130, -v200
	v_mul_f32_e32 v176, 0xbf06c442, v176
	v_fmac_f32_e32 v175, 0x3f6eb680, v118
	v_mul_f32_e32 v177, 0x3f2c7751, v177
	v_mul_f32_e32 v178, 0xbf4c4adb, v178
	v_add_f32_e32 v67, v70, v67
	v_fma_f32 v70, 0xbf59a7d5, v135, -v201
	v_mul_f32_e32 v179, 0x3f65296c, v179
	v_mul_f32_e32 v180, 0xbf763a35, v180
	v_fma_f32 v86, 0xbf1a4643, v157, -v218
	v_fmac_f32_e32 v225, 0xbe8c1d8e, v118
	v_add_f32_e32 v67, v70, v67
	v_fma_f32 v70, 0xbf1a4643, v143, -v202
	v_sub_f32_e32 v88, v138, v88
	v_add_f32_e32 v86, v106, v86
	v_fma_f32 v87, 0x3dbcf732, v157, -v189
	v_add_f32_e32 v90, v106, v90
	v_add_f32_e32 v71, v70, v67
	v_fmamk_f32 v67, v173, 0x3f3d2fb0, v203
	v_mul_f32_e32 v70, 0x3f2c7751, v181
	v_add_f32_e32 v88, v106, v88
	v_add_f32_e32 v87, v106, v87
	v_fmac_f32_e32 v196, 0xbf7ba420, v118
	v_add_f32_e32 v67, v67, v66
	v_fma_f32 v66, 0x3f3d2fb0, v150, -v70
	v_fmac_f32_e32 v198, 0xbe8c1d8e, v121
	v_fmac_f32_e32 v199, 0x3f6eb680, v126
	;; [unrolled: 1-line block ×4, first 2 shown]
	v_add_f32_e32 v66, v66, v71
	v_fmamk_f32 v71, v157, 0xbe8c1d8e, v81
	v_fma_f32 v81, 0xbe8c1d8e, v157, -v81
	v_fmac_f32_e32 v202, 0xbf1a4643, v143
	v_fmac_f32_e32 v239, 0x3ee437d1, v118
	;; [unrolled: 1-line block ×3, first 2 shown]
	v_add_f32_e32 v71, v106, v71
	v_add_f32_e32 v81, v106, v81
	v_mov_b32_e32 v68, v144
	v_mov_b32_e32 v144, v111
	v_mov_b32_e32 v111, v108
	v_add_f32_e32 v71, v72, v71
	v_fmamk_f32 v72, v149, 0x3f3d2fb0, v204
	v_add_f32_e32 v81, v82, v81
	v_fma_f32 v82, 0x3f3d2fb0, v149, -v204
	v_fma_f32 v204, 0x3ee437d1, v160, -v205
	v_mov_b32_e32 v108, v107
	v_add_f32_e32 v71, v72, v71
	v_fmamk_f32 v72, v160, 0x3ee437d1, v205
	v_add_f32_e32 v81, v82, v81
	v_mov_b32_e32 v107, v114
	v_mul_f32_e32 v114, 0x3f7ee86f, v151
	v_mul_f32_e32 v181, 0x3f7ee86f, v181
	v_add_f32_e32 v71, v72, v71
	v_fmamk_f32 v72, v166, 0xbf7ba420, v206
	v_add_f32_e32 v81, v204, v81
	v_fma_f32 v204, 0xbf7ba420, v166, -v206
	v_add_f32_e32 v69, v60, v69
	v_fmac_f32_e32 v70, 0x3f3d2fb0, v150
	v_add_f32_e32 v71, v72, v71
	v_fmamk_f32 v72, v170, 0x3dbcf732, v207
	v_add_f32_e32 v81, v204, v81
	v_fma_f32 v204, 0x3dbcf732, v170, -v207
	v_add_f32_e32 v62, v62, v69
	v_add_f32_e32 v71, v72, v71
	v_fma_f32 v72, 0xbe8c1d8e, v153, -v208
	v_fmac_f32_e32 v208, 0xbe8c1d8e, v153
	v_add_f32_e32 v81, v204, v81
	v_fma_f32 v204, 0x3f6eb680, v172, -v210
	v_add_f32_e32 v72, v105, v72
	v_add_f32_e32 v82, v105, v208
	;; [unrolled: 1-line block ×4, first 2 shown]
	v_fmamk_f32 v73, v172, 0x3f6eb680, v210
	v_add_f32_e32 v82, v209, v82
	v_add_f32_e32 v71, v73, v71
	v_fma_f32 v73, 0x3f3d2fb0, v121, -v211
	v_fmac_f32_e32 v211, 0x3f3d2fb0, v121
	v_add_f32_e32 v72, v73, v72
	v_fma_f32 v73, 0x3ee437d1, v126, -v212
	v_add_f32_e32 v82, v211, v82
	v_fmac_f32_e32 v212, 0x3ee437d1, v126
	v_add_f32_e32 v72, v73, v72
	v_fma_f32 v73, 0xbf7ba420, v130, -v213
	v_add_f32_e32 v82, v212, v82
	;; [unrolled: 4-line block ×4, first 2 shown]
	v_fmac_f32_e32 v215, 0x3f6eb680, v143
	v_add_f32_e32 v73, v73, v72
	v_fmamk_f32 v72, v173, 0xbf1a4643, v216
	v_add_f32_e32 v204, v215, v82
	v_fma_f32 v82, 0xbf1a4643, v173, -v216
	v_add_f32_e32 v72, v72, v71
	v_fma_f32 v71, 0xbf1a4643, v150, -v217
	v_fmac_f32_e32 v217, 0xbf1a4643, v150
	v_add_f32_e32 v82, v82, v81
	v_add_f32_e32 v71, v71, v73
	v_fmamk_f32 v73, v157, 0xbf1a4643, v218
	v_add_f32_e32 v81, v217, v204
	v_add_f32_e32 v73, v106, v73
	;; [unrolled: 1-line block ×3, first 2 shown]
	v_fmamk_f32 v74, v149, 0x3f6eb680, v220
	v_add_f32_e32 v73, v74, v73
	v_fmamk_f32 v74, v160, 0xbf59a7d5, v221
	v_add_f32_e32 v73, v74, v73
	;; [unrolled: 2-line block ×4, first 2 shown]
	v_fma_f32 v74, 0xbf1a4643, v153, -v224
	v_fmac_f32_e32 v224, 0xbf1a4643, v153
	v_add_f32_e32 v74, v105, v74
	v_add_f32_e32 v154, v105, v224
	;; [unrolled: 1-line block ×3, first 2 shown]
	v_fmamk_f32 v75, v172, 0xbf7ba420, v226
	v_add_f32_e32 v73, v75, v73
	v_fma_f32 v75, 0x3f6eb680, v121, -v227
	v_fmac_f32_e32 v227, 0x3f6eb680, v121
	v_add_f32_e32 v74, v75, v74
	v_fma_f32 v75, 0xbf59a7d5, v126, -v228
	v_fmac_f32_e32 v228, 0xbf59a7d5, v126
	;; [unrolled: 3-line block ×5, first 2 shown]
	v_add_f32_e32 v75, v75, v74
	v_fmamk_f32 v74, v173, 0x3ee437d1, v232
	v_add_f32_e32 v74, v74, v73
	v_fma_f32 v73, 0x3ee437d1, v150, -v233
	v_fmac_f32_e32 v233, 0x3ee437d1, v150
	v_add_f32_e32 v73, v73, v75
	v_fmamk_f32 v75, v157, 0xbf59a7d5, v79
	v_fma_f32 v79, 0xbf59a7d5, v157, -v79
	v_add_f32_e32 v75, v106, v75
	v_add_f32_e32 v79, v106, v79
	;; [unrolled: 1-line block ×3, first 2 shown]
	v_fmamk_f32 v76, v149, 0x3dbcf732, v234
	v_add_f32_e32 v79, v80, v79
	v_fma_f32 v80, 0x3dbcf732, v149, -v234
	v_fma_f32 v234, 0x3f6eb680, v166, -v236
	v_add_f32_e32 v75, v76, v75
	v_fmamk_f32 v76, v160, 0xbf1a4643, v235
	v_add_f32_e32 v79, v80, v79
	v_fma_f32 v80, 0xbf1a4643, v160, -v235
	v_add_f32_e32 v75, v76, v75
	v_fmamk_f32 v76, v166, 0x3f6eb680, v236
	v_add_f32_e32 v79, v80, v79
	v_add_f32_e32 v75, v76, v75
	v_fmamk_f32 v76, v170, 0xbf7ba420, v237
	v_add_f32_e32 v79, v234, v79
	v_fma_f32 v234, 0xbf7ba420, v170, -v237
	v_add_f32_e32 v75, v76, v75
	v_fma_f32 v76, 0xbf59a7d5, v153, -v238
	v_fmac_f32_e32 v238, 0xbf59a7d5, v153
	v_add_f32_e32 v79, v234, v79
	v_fma_f32 v234, 0x3f3d2fb0, v172, -v240
	v_add_f32_e32 v76, v105, v76
	v_add_f32_e32 v80, v105, v238
	;; [unrolled: 1-line block ×4, first 2 shown]
	v_fmamk_f32 v77, v172, 0x3f3d2fb0, v240
	v_add_f32_e32 v80, v239, v80
	v_add_f32_e32 v75, v77, v75
	v_fma_f32 v77, 0x3dbcf732, v121, -v241
	v_fmac_f32_e32 v241, 0x3dbcf732, v121
	v_add_f32_e32 v76, v77, v76
	v_fma_f32 v77, 0xbf1a4643, v126, -v242
	v_add_f32_e32 v80, v241, v80
	v_fmac_f32_e32 v242, 0xbf1a4643, v126
	v_add_f32_e32 v76, v77, v76
	v_fma_f32 v77, 0x3f6eb680, v130, -v243
	v_add_f32_e32 v80, v242, v80
	;; [unrolled: 4-line block ×4, first 2 shown]
	v_fmac_f32_e32 v245, 0x3f3d2fb0, v143
	v_add_f32_e32 v77, v77, v76
	v_fmamk_f32 v76, v173, 0xbe8c1d8e, v246
	v_add_f32_e32 v234, v245, v80
	v_fma_f32 v80, 0xbe8c1d8e, v173, -v246
	v_add_f32_e32 v76, v76, v75
	v_fma_f32 v75, 0xbe8c1d8e, v150, -v247
	v_fmac_f32_e32 v247, 0xbe8c1d8e, v150
	v_add_f32_e32 v80, v80, v79
	v_add_f32_e32 v75, v75, v77
	v_fmamk_f32 v77, v157, 0xbf7ba420, v248
	v_add_f32_e32 v79, v247, v234
	v_add_f32_e32 v77, v106, v77
	v_fma_f32 v106, 0x3ee437d1, v170, -v253
	v_add_f32_e32 v77, v78, v77
	v_fmamk_f32 v78, v149, 0xbf59a7d5, v250
	v_add_f32_e32 v77, v78, v77
	v_fmamk_f32 v78, v160, 0x3f3d2fb0, v251
	;; [unrolled: 2-line block ×4, first 2 shown]
	v_add_f32_e32 v77, v78, v77
	v_fma_f32 v78, 0xbf7ba420, v153, -v174
	v_fmac_f32_e32 v174, 0xbf7ba420, v153
	v_add_f32_e32 v78, v105, v78
	v_add_f32_e32 v153, v105, v174
	v_fma_f32 v105, 0x3f6eb680, v137, -v249
	v_add_f32_e32 v78, v254, v78
	v_mul_f32_e32 v254, 0xbf763a35, v148
	v_add_f32_e32 v85, v105, v85
	v_fma_f32 v105, 0xbf59a7d5, v149, -v250
	v_fmamk_f32 v255, v172, 0xbe8c1d8e, v254
	v_add_f32_e32 v85, v105, v85
	v_fma_f32 v105, 0x3f3d2fb0, v160, -v251
	v_add_f32_e32 v77, v255, v77
	v_fma_f32 v255, 0xbf59a7d5, v121, -v176
	v_fmac_f32_e32 v176, 0xbf59a7d5, v121
	v_add_f32_e32 v85, v105, v85
	v_fma_f32 v105, 0xbf1a4643, v166, -v252
	v_add_f32_e32 v78, v255, v78
	v_fma_f32 v255, 0x3f3d2fb0, v126, -v177
	v_fmac_f32_e32 v177, 0x3f3d2fb0, v126
	v_add_f32_e32 v85, v105, v85
	v_add_f32_e32 v105, v175, v153
	;; [unrolled: 1-line block ×3, first 2 shown]
	v_fma_f32 v255, 0xbf1a4643, v130, -v178
	v_fmac_f32_e32 v178, 0xbf1a4643, v130
	v_add_f32_e32 v105, v176, v105
	v_add_f32_e32 v85, v106, v85
	v_fma_f32 v106, 0xbe8c1d8e, v172, -v254
	v_add_f32_e32 v78, v255, v78
	v_fma_f32 v255, 0x3ee437d1, v135, -v179
	v_add_f32_e32 v105, v177, v105
	v_fmac_f32_e32 v179, 0x3ee437d1, v135
	v_add_f32_e32 v85, v106, v85
	v_fma_f32 v106, 0x3dbcf732, v166, -v222
	v_add_f32_e32 v78, v255, v78
	v_add_f32_e32 v105, v178, v105
	v_fma_f32 v255, 0xbe8c1d8e, v143, -v180
	v_fmac_f32_e32 v180, 0xbe8c1d8e, v143
	v_add_f32_e32 v105, v179, v105
	v_add_f32_e32 v255, v255, v78
	v_fmamk_f32 v78, v173, 0x3dbcf732, v114
	v_add_f32_e32 v153, v180, v105
	v_fma_f32 v105, 0xbe8c1d8e, v137, -v219
	v_add_f32_e32 v78, v78, v77
	v_fma_f32 v77, 0x3dbcf732, v150, -v181
	v_fmac_f32_e32 v181, 0x3dbcf732, v150
	v_add_f32_e32 v86, v105, v86
	v_fma_f32 v105, 0x3f6eb680, v149, -v220
	v_add_f32_e32 v77, v77, v255
	v_add_f32_e32 v86, v105, v86
	v_fma_f32 v105, 0xbf59a7d5, v160, -v221
	v_add_f32_e32 v86, v105, v86
	v_add_f32_e32 v105, v225, v154
	v_mul_f32_e32 v154, 0xbf7ee86f, v122
	v_add_f32_e32 v86, v106, v86
	v_add_f32_e32 v105, v227, v105
	v_sub_f32_e32 v138, v163, v154
	v_fma_f32 v106, 0x3f3d2fb0, v170, -v223
	v_add_f32_e32 v105, v228, v105
	v_add_f32_e32 v88, v138, v88
	v_mul_f32_e32 v138, 0xbf4c4adb, v127
	v_add_f32_e32 v86, v106, v86
	v_fma_f32 v106, 0xbf7ba420, v137, -v190
	v_add_f32_e32 v105, v229, v105
	v_fma_f32 v137, 0xbf7ba420, v172, -v226
	v_sub_f32_e32 v138, v167, v138
	v_add_f32_e32 v105, v230, v105
	v_add_f32_e32 v137, v137, v86
	;; [unrolled: 1-line block ×3, first 2 shown]
	v_mul_f32_e32 v138, 0xbe3c28d5, v131
	v_add_f32_e32 v86, v106, v87
	v_fma_f32 v87, 0xbe8c1d8e, v149, -v191
	v_add_f32_e32 v149, v231, v105
	v_add_f32_e32 v105, v196, v155
	v_sub_f32_e32 v138, v146, v138
	v_mul_f32_e32 v146, 0x3dbcf732, v118
	v_mul_f32_e32 v118, 0x3f3d2fb0, v118
	v_fma_f32 v106, 0x3ee437d1, v173, -v232
	v_add_f32_e32 v105, v198, v105
	v_add_f32_e32 v88, v138, v88
	;; [unrolled: 1-line block ×3, first 2 shown]
	v_mul_f32_e32 v138, 0x3f06c442, v136
	v_add_f32_e32 v86, v87, v86
	v_add_f32_e32 v105, v199, v105
	v_fma_f32 v87, 0x3f6eb680, v160, -v192
	v_add_f32_e32 v89, v132, v89
	v_mul_f32_e32 v132, 0xbf1a4643, v121
	v_sub_f32_e32 v138, v123, v138
	v_add_f32_e32 v105, v200, v105
	v_mul_f32_e32 v123, 0xbf65296c, v127
	v_add_f32_e32 v86, v87, v86
	v_add_f32_e32 v132, v132, v164
	;; [unrolled: 1-line block ×3, first 2 shown]
	v_mul_f32_e32 v138, 0x3f763a35, v142
	v_add_f32_e32 v105, v201, v105
	v_sub_f32_e32 v123, v156, v123
	v_add_f32_e32 v89, v132, v89
	v_mul_f32_e32 v132, 0xbf7ba420, v126
	v_sub_f32_e32 v138, v119, v138
	v_fma_f32 v87, 0x3ee437d1, v166, -v193
	v_add_f32_e32 v132, v132, v165
	v_add_f32_e32 v88, v138, v88
	v_mul_f32_e32 v138, 0x3f65296c, v148
	v_add_f32_e32 v86, v87, v86
	v_fma_f32 v87, 0xbf59a7d5, v170, -v194
	v_add_f32_e32 v89, v132, v89
	v_mul_f32_e32 v132, 0xbf59a7d5, v130
	v_sub_f32_e32 v138, v141, v138
	v_add_f32_e32 v141, v202, v105
	v_add_f32_e32 v86, v87, v86
	v_fma_f32 v87, 0xbf1a4643, v172, -v197
	v_add_f32_e32 v132, v132, v169
	v_add_f32_e32 v105, v138, v88
	;; [unrolled: 1-line block ×4, first 2 shown]
	v_mul_f32_e32 v132, 0xbe8c1d8e, v135
	v_fma_f32 v86, 0x3dbcf732, v173, -v114
	v_fma_f32 v114, 0x3f3d2fb0, v173, -v203
	v_add_f32_e32 v132, v132, v171
	v_add_f32_e32 v86, v86, v85
	;; [unrolled: 1-line block ×3, first 2 shown]
	v_mul_f32_e32 v89, 0xbf2c7751, v122
	v_mul_f32_e32 v122, 0x3ee437d1, v143
	v_sub_f32_e32 v89, v152, v89
	v_add_f32_e32 v122, v122, v125
	v_mul_f32_e32 v125, 0xbf7ee86f, v131
	v_add_f32_e32 v89, v89, v90
	v_mul_f32_e32 v90, 0x3eb8f4ab, v151
	v_sub_f32_e32 v119, v159, v125
	v_add_f32_e32 v89, v123, v89
	v_sub_f32_e32 v127, v120, v90
	v_add_f32_e32 v90, v118, v129
	v_mul_f32_e32 v118, 0x3ee437d1, v121
	v_mul_f32_e32 v121, 0xbf763a35, v136
	v_add_f32_e32 v89, v119, v89
	v_mul_f32_e32 v120, 0xbf4c4adb, v142
	v_add_f32_e32 v90, v90, v91
	v_add_f32_e32 v91, v118, v134
	v_sub_f32_e32 v119, v161, v121
	v_add_f32_e32 v121, v122, v88
	v_add_f32_e32 v88, v106, v137
	;; [unrolled: 1-line block ×3, first 2 shown]
	v_mul_f32_e32 v118, 0x3dbcf732, v126
	v_add_f32_e32 v89, v119, v89
	v_sub_f32_e32 v119, v139, v120
	v_mul_f32_e32 v120, 0xbf06c442, v148
	v_add_f32_e32 v90, v91, v90
	v_add_f32_e32 v91, v118, v124
	v_mul_f32_e32 v118, 0xbe8c1d8e, v130
	v_add_f32_e32 v89, v119, v89
	v_sub_f32_e32 v119, v145, v120
	v_mul_f32_e32 v122, 0xbe3c28d5, v151
	v_add_f32_e32 v90, v91, v90
	v_add_f32_e32 v91, v118, v128
	v_mul_f32_e32 v118, 0xbf1a4643, v135
	v_add_f32_e32 v89, v119, v89
	v_mul_f32_e32 v119, 0xbf7ba420, v150
	v_mul_f32_e32 v120, 0x3f6eb680, v150
	v_add_f32_e32 v90, v91, v90
	v_add_f32_e32 v91, v118, v133
	v_mul_f32_e32 v118, 0xbf59a7d5, v143
	v_add_f32_e32 v105, v119, v68
	buffer_load_dword v68, off, s[16:19], 0 ; 4-byte Folded Reload
	v_sub_f32_e32 v85, v147, v122
	v_add_f32_e32 v91, v91, v90
	v_add_f32_e32 v118, v118, v140
	;; [unrolled: 1-line block ×3, first 2 shown]
	v_mul_lo_u16 v87, v110, 17
	v_mov_b32_e32 v114, v107
	v_mov_b32_e32 v107, v108
	;; [unrolled: 1-line block ×4, first 2 shown]
	v_add_f32_e32 v91, v118, v91
	v_and_b32_e32 v87, 0xffff, v87
	v_add_f32_e32 v120, v120, v158
	v_add_f32_e32 v60, v105, v91
	;; [unrolled: 1-line block ×3, first 2 shown]
	s_waitcnt vmcnt(0)
	v_add_f32_e32 v68, v61, v68
	v_add_f32_e32 v61, v85, v89
	v_add_f32_e32 v89, v70, v141
	v_add_f32_e32 v85, v181, v153
	v_add_f32_e32 v63, v63, v68
	v_lshl_add_u32 v68, v87, 3, v111
	v_add_f32_e32 v87, v233, v149
	ds_write2_b64 v68, v[62:63], v[60:61] offset1:1
	ds_write2_b64 v68, v[105:106], v[83:84] offset0:2 offset1:3
	ds_write2_b64 v68, v[89:90], v[81:82] offset0:4 offset1:5
	;; [unrolled: 1-line block ×7, first 2 shown]
	ds_write_b64 v68, v[103:104] offset:128
.LBB0_17:
	s_or_b32 exec_lo, exec_lo, s1
	v_add_nc_u32_e32 v68, 0x1000, v112
	v_add_nc_u32_e32 v60, 0x400, v112
	v_add_nc_u32_e32 v69, 0x1400, v112
	v_add_nc_u32_e32 v70, 0x2000, v112
	v_add_nc_u32_e32 v71, 0x800, v112
	v_add_nc_u32_e32 v88, 0x1800, v112
	s_waitcnt lgkmcnt(0)
	s_waitcnt_vscnt null, 0x0
	s_barrier
	buffer_gl0_inv
	ds_read2_b64 v[64:67], v112 offset1:85
	ds_read2_b64 v[60:63], v60 offset0:42 offset1:144
	ds_read2_b64 v[84:87], v68 offset0:32 offset1:117
	;; [unrolled: 1-line block ×6, first 2 shown]
	ds_read_b64 v[88:89], v112 offset:10064
	s_and_saveexec_b32 s1, s0
	s_cbranch_execz .LBB0_19
; %bb.18:
	ds_read_b64 v[101:102], v112 offset:2040
	ds_read_b64 v[103:104], v112 offset:4216
	;; [unrolled: 1-line block ×5, first 2 shown]
.LBB0_19:
	s_or_b32 exec_lo, exec_lo, s1
	s_waitcnt lgkmcnt(6)
	v_mul_f32_e32 v90, v29, v63
	v_mul_f32_e32 v29, v29, v62
	s_waitcnt lgkmcnt(5)
	v_mul_f32_e32 v91, v31, v85
	v_mul_f32_e32 v31, v31, v84
	s_waitcnt lgkmcnt(4)
	v_mul_f32_e32 v105, v25, v75
	v_fmac_f32_e32 v90, v28, v62
	v_fma_f32 v28, v28, v63, -v29
	v_fmac_f32_e32 v91, v30, v84
	v_fma_f32 v29, v30, v85, -v31
	v_mul_f32_e32 v25, v25, v74
	s_waitcnt lgkmcnt(3)
	v_mul_f32_e32 v30, v27, v81
	v_mul_f32_e32 v27, v27, v80
	s_waitcnt lgkmcnt(2)
	v_mul_f32_e32 v31, v21, v77
	;; [unrolled: 3-line block ×3, first 2 shown]
	v_mul_f32_e32 v13, v13, v68
	v_fmac_f32_e32 v105, v24, v74
	v_fma_f32 v24, v24, v75, -v25
	v_fma_f32 v25, v26, v81, -v27
	v_fmac_f32_e32 v31, v20, v76
	v_fma_f32 v62, v20, v77, -v21
	v_mul_f32_e32 v27, v23, v87
	v_mul_f32_e32 v20, v23, v86
	;; [unrolled: 1-line block ×3, first 2 shown]
	v_fmac_f32_e32 v63, v12, v68
	v_fma_f32 v68, v12, v69, -v13
	v_mul_f32_e32 v12, v15, v82
	v_mul_f32_e32 v13, v17, v78
	;; [unrolled: 1-line block ×4, first 2 shown]
	v_fmac_f32_e32 v23, v14, v82
	v_fma_f32 v76, v14, v83, -v12
	v_fma_f32 v77, v16, v79, -v13
	v_fmac_f32_e32 v75, v18, v72
	v_fma_f32 v72, v18, v73, -v15
	v_mul_f32_e32 v73, v9, v71
	v_mul_f32_e32 v13, v9, v70
	v_add_f32_e32 v14, v64, v90
	v_fmac_f32_e32 v30, v26, v80
	v_mul_f32_e32 v69, v17, v79
	v_add_f32_e32 v12, v91, v105
	v_fmac_f32_e32 v73, v8, v70
	v_fma_f32 v8, v8, v71, -v13
	v_add_f32_e32 v13, v14, v91
	v_fmac_f32_e32 v69, v16, v78
	s_waitcnt lgkmcnt(0)
	v_mul_f32_e32 v78, v11, v89
	v_fma_f32 v9, -0.5, v12, v64
	v_sub_f32_e32 v15, v28, v25
	v_sub_f32_e32 v14, v90, v91
	;; [unrolled: 1-line block ×3, first 2 shown]
	v_add_f32_e32 v18, v90, v30
	v_mul_f32_e32 v11, v11, v88
	v_add_f32_e32 v13, v13, v105
	v_fma_f32 v74, v22, v87, -v20
	v_fmac_f32_e32 v78, v10, v88
	v_fmamk_f32 v12, v15, 0xbf737871, v9
	v_sub_f32_e32 v17, v29, v24
	v_add_f32_e32 v19, v14, v16
	v_fma_f32 v14, -0.5, v18, v64
	v_fma_f32 v11, v10, v89, -v11
	v_add_f32_e32 v16, v13, v30
	v_fmac_f32_e32 v9, 0x3f737871, v15
	v_sub_f32_e32 v10, v91, v90
	v_sub_f32_e32 v13, v105, v30
	v_add_f32_e32 v20, v65, v28
	v_fmac_f32_e32 v27, v22, v86
	v_fmac_f32_e32 v12, 0xbf167918, v17
	v_fmamk_f32 v18, v17, 0x3f737871, v14
	v_fmac_f32_e32 v9, 0x3f167918, v17
	v_add_f32_e32 v21, v29, v24
	v_add_f32_e32 v22, v10, v13
	v_fmac_f32_e32 v14, 0xbf737871, v17
	v_add_f32_e32 v13, v20, v29
	v_fmac_f32_e32 v12, 0x3e9e377a, v19
	v_fmac_f32_e32 v18, 0xbf167918, v15
	v_fma_f32 v10, -0.5, v21, v65
	v_sub_f32_e32 v21, v90, v30
	v_fmac_f32_e32 v9, 0x3e9e377a, v19
	v_fmac_f32_e32 v14, 0x3f167918, v15
	v_add_f32_e32 v17, v13, v24
	v_add_f32_e32 v15, v28, v25
	v_sub_f32_e32 v19, v28, v29
	v_sub_f32_e32 v20, v25, v24
	v_fmac_f32_e32 v18, 0x3e9e377a, v22
	v_fmamk_f32 v13, v21, 0x3f737871, v10
	v_sub_f32_e32 v26, v91, v105
	v_fmac_f32_e32 v14, 0x3e9e377a, v22
	v_fma_f32 v15, -0.5, v15, v65
	v_add_f32_e32 v17, v17, v25
	v_add_f32_e32 v22, v19, v20
	v_fmac_f32_e32 v10, 0xbf737871, v21
	v_sub_f32_e32 v20, v29, v28
	v_sub_f32_e32 v24, v24, v25
	v_add_f32_e32 v25, v27, v63
	v_add_f32_e32 v28, v66, v31
	v_fmac_f32_e32 v13, 0x3f167918, v26
	v_fmamk_f32 v19, v26, 0xbf737871, v15
	v_fmac_f32_e32 v10, 0xbf167918, v26
	v_add_f32_e32 v24, v20, v24
	v_fma_f32 v20, -0.5, v25, v66
	v_sub_f32_e32 v25, v62, v76
	v_fmac_f32_e32 v15, 0x3f737871, v26
	v_add_f32_e32 v26, v28, v27
	v_add_f32_e32 v64, v31, v23
	v_fmac_f32_e32 v13, 0x3e9e377a, v22
	v_fmac_f32_e32 v19, 0x3f167918, v21
	;; [unrolled: 1-line block ×3, first 2 shown]
	v_fmamk_f32 v22, v25, 0xbf737871, v20
	v_sub_f32_e32 v28, v74, v68
	v_sub_f32_e32 v29, v31, v27
	;; [unrolled: 1-line block ×3, first 2 shown]
	v_fmac_f32_e32 v15, 0xbf167918, v21
	v_add_f32_e32 v21, v26, v63
	v_fma_f32 v66, -0.5, v64, v66
	v_fmac_f32_e32 v20, 0x3f737871, v25
	v_add_f32_e32 v64, v67, v62
	v_fmac_f32_e32 v19, 0x3e9e377a, v24
	v_fmac_f32_e32 v22, 0xbf167918, v28
	v_add_f32_e32 v29, v29, v30
	v_fmac_f32_e32 v15, 0x3e9e377a, v24
	v_add_f32_e32 v24, v21, v23
	v_fmamk_f32 v26, v28, 0x3f737871, v66
	v_sub_f32_e32 v21, v27, v31
	v_sub_f32_e32 v30, v63, v23
	v_fmac_f32_e32 v20, 0x3f167918, v28
	v_add_f32_e32 v65, v74, v68
	v_fmac_f32_e32 v66, 0xbf737871, v28
	v_add_f32_e32 v28, v64, v74
	v_fmac_f32_e32 v22, 0x3e9e377a, v29
	v_fmac_f32_e32 v26, 0xbf167918, v25
	v_add_f32_e32 v30, v21, v30
	v_fma_f32 v21, -0.5, v65, v67
	v_sub_f32_e32 v31, v31, v23
	v_fmac_f32_e32 v20, 0x3e9e377a, v29
	v_fmac_f32_e32 v66, 0x3f167918, v25
	v_add_f32_e32 v25, v28, v68
	v_add_f32_e32 v28, v62, v76
	v_sub_f32_e32 v29, v27, v63
	v_sub_f32_e32 v27, v62, v74
	;; [unrolled: 1-line block ×3, first 2 shown]
	v_fmac_f32_e32 v26, 0x3e9e377a, v30
	v_fmamk_f32 v23, v31, 0x3f737871, v21
	v_fmac_f32_e32 v66, 0x3e9e377a, v30
	v_fmac_f32_e32 v67, -0.5, v28
	v_add_f32_e32 v30, v27, v63
	v_fmac_f32_e32 v21, 0xbf737871, v31
	v_sub_f32_e32 v28, v74, v62
	v_sub_f32_e32 v62, v68, v76
	v_add_f32_e32 v63, v75, v73
	v_fmac_f32_e32 v23, 0x3f167918, v29
	v_fmamk_f32 v27, v29, 0xbf737871, v67
	v_fmac_f32_e32 v21, 0xbf167918, v29
	v_add_f32_e32 v62, v28, v62
	v_fmac_f32_e32 v67, 0x3f737871, v29
	v_add_f32_e32 v29, v60, v69
	v_fma_f32 v28, -0.5, v63, v60
	v_sub_f32_e32 v63, v77, v11
	v_fmac_f32_e32 v23, 0x3e9e377a, v30
	v_fmac_f32_e32 v27, 0x3f167918, v31
	;; [unrolled: 1-line block ×4, first 2 shown]
	v_add_f32_e32 v29, v29, v75
	v_fmamk_f32 v30, v63, 0xbf737871, v28
	v_sub_f32_e32 v31, v72, v8
	v_sub_f32_e32 v64, v69, v75
	;; [unrolled: 1-line block ×3, first 2 shown]
	v_fmac_f32_e32 v28, 0x3f737871, v63
	v_add_f32_e32 v68, v69, v78
	v_add_f32_e32 v29, v29, v73
	v_fmac_f32_e32 v30, 0xbf167918, v31
	v_add_f32_e32 v64, v64, v65
	v_fmac_f32_e32 v28, 0x3f167918, v31
	v_fma_f32 v60, -0.5, v68, v60
	v_sub_f32_e32 v65, v75, v69
	v_sub_f32_e32 v68, v73, v78
	v_fmac_f32_e32 v27, 0x3e9e377a, v62
	v_fmac_f32_e32 v67, 0x3e9e377a, v62
	v_add_f32_e32 v62, v29, v78
	v_fmac_f32_e32 v30, 0x3e9e377a, v64
	v_fmac_f32_e32 v28, 0x3e9e377a, v64
	v_fmamk_f32 v64, v31, 0x3f737871, v60
	v_add_f32_e32 v29, v72, v8
	v_fmac_f32_e32 v60, 0xbf737871, v31
	v_add_f32_e32 v31, v61, v77
	v_add_f32_e32 v65, v65, v68
	;; [unrolled: 1-line block ×3, first 2 shown]
	v_fma_f32 v29, -0.5, v29, v61
	v_sub_f32_e32 v69, v69, v78
	v_fmac_f32_e32 v64, 0xbf167918, v63
	v_fmac_f32_e32 v60, 0x3f167918, v63
	v_add_f32_e32 v63, v31, v72
	v_sub_f32_e32 v70, v75, v73
	v_fmac_f32_e32 v61, -0.5, v68
	v_fmamk_f32 v31, v69, 0x3f737871, v29
	v_fmac_f32_e32 v64, 0x3e9e377a, v65
	v_fmac_f32_e32 v60, 0x3e9e377a, v65
	v_add_f32_e32 v63, v63, v8
	v_sub_f32_e32 v68, v77, v72
	v_sub_f32_e32 v71, v11, v8
	v_fmac_f32_e32 v29, 0xbf737871, v69
	v_fmamk_f32 v65, v70, 0xbf737871, v61
	v_sub_f32_e32 v72, v72, v77
	v_sub_f32_e32 v8, v8, v11
	v_fmac_f32_e32 v61, 0x3f737871, v70
	v_fmac_f32_e32 v31, 0x3f167918, v70
	v_add_f32_e32 v68, v68, v71
	v_fmac_f32_e32 v29, 0xbf167918, v70
	v_fmac_f32_e32 v65, 0x3f167918, v69
	v_add_f32_e32 v8, v72, v8
	v_fmac_f32_e32 v61, 0xbf167918, v69
	v_add_f32_e32 v25, v25, v76
	v_add_f32_e32 v63, v63, v11
	v_fmac_f32_e32 v31, 0x3e9e377a, v68
	v_fmac_f32_e32 v29, 0x3e9e377a, v68
	;; [unrolled: 1-line block ×4, first 2 shown]
	s_barrier
	buffer_gl0_inv
	ds_write2_b64 v117, v[16:17], v[12:13] offset1:17
	ds_write2_b64 v117, v[18:19], v[14:15] offset0:34 offset1:51
	ds_write_b64 v117, v[9:10] offset:544
	ds_write2_b64 v116, v[24:25], v[22:23] offset1:17
	ds_write2_b64 v116, v[26:27], v[66:67] offset0:34 offset1:51
	ds_write_b64 v116, v[20:21] offset:544
	;; [unrolled: 3-line block ×3, first 2 shown]
	s_and_saveexec_b32 s1, s0
	s_cbranch_execz .LBB0_21
; %bb.20:
	v_mul_f32_e32 v8, v5, v103
	v_mul_f32_e32 v9, v3, v95
	;; [unrolled: 1-line block ×5, first 2 shown]
	v_fma_f32 v8, v4, v104, -v8
	v_fma_f32 v9, v2, v96, -v9
	v_mul_f32_e32 v1, v1, v97
	v_fma_f32 v10, v6, v100, -v10
	v_fmac_f32_e32 v11, v6, v99
	v_fmac_f32_e32 v12, v0, v97
	v_add_f32_e32 v6, v8, v9
	v_mul_f32_e32 v13, v5, v104
	v_mul_f32_e32 v14, v3, v96
	v_fma_f32 v15, v0, v98, -v1
	v_sub_f32_e32 v0, v11, v12
	v_fma_f32 v1, -0.5, v6, v102
	v_fmac_f32_e32 v13, v4, v103
	v_fmac_f32_e32 v14, v2, v95
	v_sub_f32_e32 v2, v10, v8
	v_sub_f32_e32 v4, v15, v9
	v_fmamk_f32 v3, v0, 0x3f737871, v1
	v_add_f32_e32 v5, v10, v15
	v_sub_f32_e32 v6, v13, v14
	v_fmac_f32_e32 v1, 0xbf737871, v0
	v_add_f32_e32 v2, v2, v4
	v_sub_f32_e32 v4, v8, v10
	v_sub_f32_e32 v16, v9, v15
	v_fmac_f32_e32 v3, 0xbf167918, v6
	v_fma_f32 v5, -0.5, v5, v102
	v_fmac_f32_e32 v1, 0x3f167918, v6
	v_add_f32_e32 v17, v11, v12
	v_add_f32_e32 v4, v4, v16
	;; [unrolled: 1-line block ×3, first 2 shown]
	v_fmamk_f32 v7, v6, 0xbf737871, v5
	v_fmac_f32_e32 v3, 0x3e9e377a, v2
	v_fmac_f32_e32 v5, 0x3f737871, v6
	v_add_f32_e32 v6, v13, v14
	v_fmac_f32_e32 v1, 0x3e9e377a, v2
	v_add_f32_e32 v2, v16, v10
	v_fmac_f32_e32 v7, 0xbf167918, v0
	v_fmac_f32_e32 v5, 0x3f167918, v0
	v_fma_f32 v0, -0.5, v6, v101
	v_sub_f32_e32 v10, v10, v15
	v_add_f32_e32 v6, v2, v15
	v_sub_f32_e32 v15, v11, v13
	v_sub_f32_e32 v16, v12, v14
	v_fmac_f32_e32 v7, 0x3e9e377a, v4
	v_sub_f32_e32 v8, v8, v9
	v_fmac_f32_e32 v5, 0x3e9e377a, v4
	v_fma_f32 v4, -0.5, v17, v101
	v_add_f32_e32 v15, v15, v16
	v_add_f32_e32 v16, v101, v13
	v_fmamk_f32 v2, v10, 0xbf737871, v0
	v_add_f32_e32 v9, v6, v9
	v_fmac_f32_e32 v0, 0x3f737871, v10
	v_sub_f32_e32 v13, v13, v11
	v_sub_f32_e32 v17, v14, v12
	v_fmamk_f32 v6, v8, 0x3f737871, v4
	v_fmac_f32_e32 v4, 0xbf737871, v8
	v_add_f32_e32 v11, v16, v11
	v_fmac_f32_e32 v2, 0x3f167918, v8
	v_fmac_f32_e32 v0, 0xbf167918, v8
	v_add_f32_e32 v13, v13, v17
	v_fmac_f32_e32 v4, 0xbf167918, v10
	v_add_f32_e32 v8, v11, v12
	v_lshl_add_u32 v11, v114, 3, v111
	v_fmac_f32_e32 v6, 0x3f167918, v10
	v_fmac_f32_e32 v2, 0x3e9e377a, v15
	;; [unrolled: 1-line block ×3, first 2 shown]
	v_add_f32_e32 v8, v8, v14
	v_add_nc_u32_e32 v10, 0x2400, v11
	v_fmac_f32_e32 v0, 0x3e9e377a, v15
	v_add_nc_u32_e32 v12, 0x2800, v11
	v_fmac_f32_e32 v6, 0x3e9e377a, v13
	ds_write2_b64 v10, v[8:9], v[4:5] offset0:123 offset1:140
	ds_write2_b64 v12, v[0:1], v[2:3] offset0:29 offset1:46
	ds_write_b64 v11, v[6:7] offset:10744
.LBB0_21:
	s_or_b32 exec_lo, exec_lo, s1
	s_waitcnt lgkmcnt(0)
	s_barrier
	buffer_gl0_inv
	ds_read2_b64 v[0:3], v112 offset1:85
	ds_read_b64 v[28:29], v112 offset:1360
	v_add_nc_u32_e32 v4, 0x400, v112
	v_add_nc_u32_e32 v8, 0x800, v112
	;; [unrolled: 1-line block ×5, first 2 shown]
	ds_read2_b64 v[4:7], v4 offset0:127 offset1:212
	ds_read2_b64 v[8:11], v8 offset0:169 offset1:254
	ds_read_b64 v[30:31], v112 offset:10200
	ds_read2_b64 v[12:15], v12 offset0:83 offset1:168
	ds_read2_b64 v[16:19], v16 offset0:125 offset1:210
	;; [unrolled: 1-line block ×3, first 2 shown]
	v_add_nc_u32_e32 v24, 0x2000, v112
	ds_read2_b64 v[24:27], v24 offset0:81 offset1:166
	s_waitcnt lgkmcnt(8)
	v_mul_f32_e32 v60, v57, v3
	v_mul_f32_e32 v57, v57, v2
	s_waitcnt lgkmcnt(7)
	v_mul_f32_e32 v61, v59, v29
	v_mul_f32_e32 v59, v59, v28
	v_fmac_f32_e32 v60, v56, v2
	v_fma_f32 v2, v56, v3, -v57
	v_fmac_f32_e32 v61, v58, v28
	s_waitcnt lgkmcnt(6)
	v_mul_f32_e32 v3, v49, v5
	v_mul_f32_e32 v28, v49, v4
	;; [unrolled: 1-line block ×4, first 2 shown]
	v_fma_f32 v29, v58, v29, -v59
	v_fmac_f32_e32 v3, v48, v4
	v_fma_f32 v4, v48, v5, -v28
	s_waitcnt lgkmcnt(5)
	v_mul_f32_e32 v5, v41, v9
	v_mul_f32_e32 v28, v41, v8
	v_fmac_f32_e32 v49, v50, v6
	v_fma_f32 v6, v50, v7, -v51
	v_mul_f32_e32 v7, v43, v11
	v_fmac_f32_e32 v5, v40, v8
	v_fma_f32 v8, v40, v9, -v28
	v_mul_f32_e32 v9, v43, v10
	s_waitcnt lgkmcnt(3)
	v_mul_f32_e32 v28, v33, v13
	v_fmac_f32_e32 v7, v42, v10
	v_mul_f32_e32 v10, v33, v12
	v_mul_f32_e32 v33, v35, v15
	v_fma_f32 v9, v42, v11, -v9
	v_mul_f32_e32 v11, v35, v14
	v_fmac_f32_e32 v28, v32, v12
	s_waitcnt lgkmcnt(2)
	v_mul_f32_e32 v12, v53, v17
	v_fma_f32 v10, v32, v13, -v10
	v_fmac_f32_e32 v33, v34, v14
	v_fma_f32 v11, v34, v15, -v11
	v_mul_f32_e32 v15, v55, v18
	v_mul_f32_e32 v13, v53, v16
	;; [unrolled: 1-line block ×3, first 2 shown]
	v_fmac_f32_e32 v12, v52, v16
	s_waitcnt lgkmcnt(1)
	v_mul_f32_e32 v16, v45, v21
	v_fma_f32 v15, v54, v19, -v15
	v_mul_f32_e32 v19, v47, v22
	v_fma_f32 v13, v52, v17, -v13
	v_fmac_f32_e32 v14, v54, v18
	v_mul_f32_e32 v17, v45, v20
	v_mul_f32_e32 v18, v47, v23
	v_fmac_f32_e32 v16, v44, v20
	s_waitcnt lgkmcnt(0)
	v_mul_f32_e32 v20, v37, v25
	v_fma_f32 v19, v46, v23, -v19
	v_mul_f32_e32 v23, v39, v26
	v_fma_f32 v17, v44, v21, -v17
	v_fmac_f32_e32 v18, v46, v22
	v_mul_f32_e32 v21, v37, v24
	v_fmac_f32_e32 v20, v36, v24
	v_mul_f32_e32 v22, v39, v27
	v_mul_f32_e32 v24, v94, v31
	v_fma_f32 v23, v38, v27, -v23
	v_fma_f32 v21, v36, v25, -v21
	v_mul_f32_e32 v25, v94, v30
	v_fmac_f32_e32 v22, v38, v26
	v_sub_f32_e32 v26, v0, v33
	v_fmac_f32_e32 v24, v93, v30
	v_sub_f32_e32 v19, v6, v19
	v_sub_f32_e32 v14, v61, v14
	;; [unrolled: 1-line block ×3, first 2 shown]
	v_fma_f32 v25, v93, v31, -v25
	v_sub_f32_e32 v11, v1, v11
	v_sub_f32_e32 v18, v49, v18
	;; [unrolled: 1-line block ×3, first 2 shown]
	v_fma_f32 v6, v6, 2.0, -v19
	v_sub_f32_e32 v22, v7, v22
	v_sub_f32_e32 v12, v60, v12
	v_fma_f32 v9, v9, 2.0, -v23
	v_sub_f32_e32 v20, v5, v20
	v_sub_f32_e32 v16, v3, v16
	;; [unrolled: 1-line block ×3, first 2 shown]
	v_add_f32_e32 v19, v26, v19
	v_add_f32_e32 v23, v14, v23
	v_fma_f32 v0, v0, 2.0, -v26
	v_fma_f32 v27, v49, 2.0, -v18
	;; [unrolled: 1-line block ×4, first 2 shown]
	v_sub_f32_e32 v13, v2, v13
	v_fma_f32 v7, v7, 2.0, -v22
	v_fma_f32 v31, v60, 2.0, -v12
	v_sub_f32_e32 v21, v8, v21
	v_fma_f32 v5, v5, 2.0, -v20
	v_sub_f32_e32 v17, v4, v17
	;; [unrolled: 2-line block ×5, first 2 shown]
	v_fma_f32 v14, v14, 2.0, -v23
	v_fma_f32 v1, v1, 2.0, -v11
	;; [unrolled: 1-line block ×3, first 2 shown]
	v_sub_f32_e32 v27, v0, v27
	v_fma_f32 v10, v10, 2.0, -v25
	v_fma_f32 v11, v11, 2.0, -v18
	v_sub_f32_e32 v9, v29, v9
	v_sub_f32_e32 v5, v31, v5
	v_fma_f32 v15, v15, 2.0, -v22
	v_add_f32_e32 v21, v12, v21
	v_sub_f32_e32 v20, v13, v20
	v_sub_f32_e32 v28, v3, v28
	v_add_f32_e32 v25, v16, v25
	v_sub_f32_e32 v24, v17, v24
	v_fmamk_f32 v32, v14, 0xbf3504f3, v26
	v_fma_f32 v2, v2, 2.0, -v13
	v_fma_f32 v31, v31, 2.0, -v5
	;; [unrolled: 1-line block ×6, first 2 shown]
	v_fmamk_f32 v33, v15, 0xbf3504f3, v11
	v_fmac_f32_e32 v32, 0x3f3504f3, v15
	v_fma_f32 v15, v17, 2.0, -v24
	v_fmamk_f32 v34, v23, 0x3f3504f3, v19
	v_add_f32_e32 v35, v27, v9
	v_fmamk_f32 v37, v22, 0x3f3504f3, v18
	v_fma_f32 v4, v4, 2.0, -v17
	v_fma_f32 v0, v0, 2.0, -v27
	v_sub_f32_e32 v7, v30, v7
	v_fmac_f32_e32 v34, 0x3f3504f3, v22
	v_fma_f32 v22, v27, 2.0, -v35
	v_fmac_f32_e32 v37, 0xbf3504f3, v23
	v_fmamk_f32 v27, v16, 0xbf3504f3, v12
	v_sub_f32_e32 v23, v31, v3
	v_fmamk_f32 v38, v15, 0xbf3504f3, v13
	v_fma_f32 v30, v30, 2.0, -v7
	v_sub_f32_e32 v8, v2, v8
	v_sub_f32_e32 v10, v4, v10
	v_fmac_f32_e32 v33, 0xbf3504f3, v14
	v_fmac_f32_e32 v27, 0x3f3504f3, v15
	v_fma_f32 v3, v31, 2.0, -v23
	v_fmac_f32_e32 v38, 0xbf3504f3, v16
	v_fmamk_f32 v31, v25, 0x3f3504f3, v21
	v_sub_f32_e32 v6, v1, v6
	v_fma_f32 v4, v4, 2.0, -v10
	v_sub_f32_e32 v30, v0, v30
	v_fma_f32 v14, v26, 2.0, -v32
	v_fma_f32 v17, v11, 2.0, -v33
	;; [unrolled: 1-line block ×3, first 2 shown]
	v_add_f32_e32 v40, v5, v10
	v_sub_f32_e32 v41, v8, v28
	v_fmamk_f32 v42, v24, 0x3f3504f3, v20
	v_fma_f32 v10, v13, 2.0, -v38
	v_fmac_f32_e32 v31, 0x3f3504f3, v24
	v_fma_f32 v29, v29, 2.0, -v9
	v_fma_f32 v2, v2, 2.0, -v8
	;; [unrolled: 1-line block ×3, first 2 shown]
	v_sub_f32_e32 v36, v6, v7
	v_fma_f32 v19, v19, 2.0, -v34
	v_fma_f32 v5, v5, 2.0, -v40
	;; [unrolled: 1-line block ×3, first 2 shown]
	v_fmac_f32_e32 v42, 0xbf3504f3, v25
	v_fma_f32 v16, v21, 2.0, -v31
	v_fmamk_f32 v8, v12, 0xbf6c835e, v14
	v_fmamk_f32 v9, v10, 0xbf6c835e, v17
	v_fma_f32 v1, v1, 2.0, -v6
	v_fma_f32 v26, v6, 2.0, -v36
	v_fma_f32 v39, v18, 2.0, -v37
	v_sub_f32_e32 v6, v0, v3
	v_fma_f32 v3, v20, 2.0, -v42
	v_fmac_f32_e32 v8, 0x3ec3ef15, v10
	v_fmamk_f32 v10, v5, 0xbf3504f3, v22
	v_fmac_f32_e32 v9, 0xbec3ef15, v12
	v_fmamk_f32 v12, v16, 0xbec3ef15, v19
	v_sub_f32_e32 v29, v1, v29
	v_sub_f32_e32 v4, v2, v4
	v_fmamk_f32 v11, v13, 0xbf3504f3, v26
	v_fmac_f32_e32 v10, 0x3f3504f3, v13
	v_fmamk_f32 v13, v3, 0xbec3ef15, v39
	v_fmac_f32_e32 v12, 0x3f6c835e, v3
	v_fma_f32 v1, v1, 2.0, -v29
	v_fma_f32 v2, v2, 2.0, -v4
	v_fmamk_f32 v20, v27, 0x3ec3ef15, v32
	v_fmac_f32_e32 v13, 0xbf6c835e, v16
	v_fma_f32 v16, v19, 2.0, -v12
	v_sub_f32_e32 v19, v29, v23
	v_sub_f32_e32 v7, v1, v2
	v_fmamk_f32 v21, v38, 0x3ec3ef15, v33
	v_fmamk_f32 v24, v40, 0x3f3504f3, v35
	v_fmamk_f32 v25, v41, 0x3f3504f3, v36
	v_fmac_f32_e32 v11, 0xbf3504f3, v5
	v_fma_f32 v23, v29, 2.0, -v19
	v_fmamk_f32 v28, v31, 0x3f6c835e, v34
	v_fmamk_f32 v29, v42, 0x3f6c835e, v37
	v_add_f32_e32 v18, v30, v4
	v_fma_f32 v0, v0, 2.0, -v6
	v_fma_f32 v1, v1, 2.0, -v7
	v_fmac_f32_e32 v20, 0x3f6c835e, v38
	v_fmac_f32_e32 v21, 0xbf6c835e, v27
	;; [unrolled: 1-line block ×4, first 2 shown]
	v_fma_f32 v2, v14, 2.0, -v8
	v_fma_f32 v3, v17, 2.0, -v9
	;; [unrolled: 1-line block ×4, first 2 shown]
	v_fmac_f32_e32 v28, 0x3ec3ef15, v42
	v_fmac_f32_e32 v29, 0xbec3ef15, v31
	v_fma_f32 v17, v39, 2.0, -v13
	v_fma_f32 v22, v30, 2.0, -v18
	v_add_nc_u32_e32 v5, 0x400, v113
	v_fma_f32 v26, v32, 2.0, -v20
	v_fma_f32 v27, v33, 2.0, -v21
	;; [unrolled: 1-line block ×4, first 2 shown]
	ds_write_b64 v113, v[0:1]
	ds_write2_b64 v113, v[2:3], v[14:15] offset0:85 offset1:170
	ds_write2_b64 v5, v[16:17], v[22:23] offset0:127 offset1:212
	v_add_nc_u32_e32 v4, 0x800, v113
	v_add_nc_u32_e32 v3, 0x1000, v113
	;; [unrolled: 1-line block ×5, first 2 shown]
	v_fma_f32 v32, v34, 2.0, -v28
	v_fma_f32 v33, v37, 2.0, -v29
	ds_write2_b64 v4, v[26:27], v[30:31] offset0:169 offset1:254
	ds_write2_b64 v3, v[32:33], v[6:7] offset0:83 offset1:168
	ds_write2_b64 v2, v[8:9], v[10:11] offset0:125 offset1:210
	ds_write2_b64 v1, v[12:13], v[18:19] offset0:167 offset1:252
	ds_write2_b64 v0, v[20:21], v[24:25] offset0:81 offset1:166
	ds_write_b64 v113, v[28:29] offset:10200
	s_waitcnt lgkmcnt(0)
	s_barrier
	buffer_gl0_inv
	s_and_b32 exec_lo, exec_lo, vcc_lo
	s_cbranch_execz .LBB0_23
; %bb.22:
	global_load_dwordx2 v[6:7], v109, s[12:13]
	ds_read_b64 v[8:9], v113
	s_mov_b32 s0, 0x18181818
	s_mov_b32 s1, 0x3f481818
	v_mad_u64_u32 v[12:13], null, s4, v110, 0
	s_mul_i32 s2, s5, 0x280
	s_mul_i32 s3, s4, 0x280
	s_waitcnt vmcnt(0) lgkmcnt(0)
	v_mul_f32_e32 v10, v9, v7
	v_mul_f32_e32 v7, v8, v7
	v_fmac_f32_e32 v10, v8, v6
	v_fma_f32 v8, v6, v9, -v7
	v_cvt_f64_f32_e32 v[6:7], v10
	v_cvt_f64_f32_e32 v[8:9], v8
	v_mad_u64_u32 v[10:11], null, s6, v92, 0
	s_mul_hi_u32 s6, s4, 0x280
	s_add_i32 s2, s6, s2
	v_add_co_u32 v17, s6, s12, v109
	v_add_co_ci_u32_e64 v18, null, s13, 0, s6
	v_mad_u64_u32 v[14:15], null, s7, v92, v[11:12]
	v_mad_u64_u32 v[15:16], null, s5, v110, v[13:14]
	v_mov_b32_e32 v11, v14
	v_mul_f64 v[6:7], v[6:7], s[0:1]
	v_mul_f64 v[8:9], v[8:9], s[0:1]
	v_mov_b32_e32 v13, v15
	v_cvt_f32_f64_e32 v6, v[6:7]
	v_cvt_f32_f64_e32 v7, v[8:9]
	v_lshlrev_b64 v[8:9], 3, v[10:11]
	v_lshlrev_b64 v[10:11], 3, v[12:13]
	v_add_co_u32 v15, vcc_lo, s14, v8
	v_add_co_ci_u32_e32 v16, vcc_lo, s15, v9, vcc_lo
	v_add_co_u32 v10, vcc_lo, v15, v10
	v_add_co_ci_u32_e32 v11, vcc_lo, v16, v11, vcc_lo
	global_store_dwordx2 v[10:11], v[6:7], off
	global_load_dwordx2 v[12:13], v109, s[12:13] offset:640
	ds_read2_b64 v[6:9], v113 offset0:80 offset1:160
	v_add_co_u32 v10, vcc_lo, v10, s3
	v_add_co_ci_u32_e32 v11, vcc_lo, s2, v11, vcc_lo
	s_waitcnt vmcnt(0) lgkmcnt(0)
	v_mul_f32_e32 v14, v7, v13
	v_mul_f32_e32 v13, v6, v13
	v_fmac_f32_e32 v14, v6, v12
	v_fma_f32 v12, v12, v7, -v13
	v_cvt_f64_f32_e32 v[6:7], v14
	v_cvt_f64_f32_e32 v[12:13], v12
	v_mul_f64 v[6:7], v[6:7], s[0:1]
	v_mul_f64 v[12:13], v[12:13], s[0:1]
	v_cvt_f32_f64_e32 v6, v[6:7]
	v_cvt_f32_f64_e32 v7, v[12:13]
	global_store_dwordx2 v[10:11], v[6:7], off
	global_load_dwordx2 v[6:7], v109, s[12:13] offset:1280
	s_waitcnt vmcnt(0)
	v_mul_f32_e32 v12, v9, v7
	v_mul_f32_e32 v7, v8, v7
	v_fmac_f32_e32 v12, v8, v6
	v_fma_f32 v8, v6, v9, -v7
	v_cvt_f64_f32_e32 v[6:7], v12
	v_cvt_f64_f32_e32 v[8:9], v8
	v_mul_f64 v[6:7], v[6:7], s[0:1]
	v_mul_f64 v[8:9], v[8:9], s[0:1]
	v_cvt_f32_f64_e32 v6, v[6:7]
	v_cvt_f32_f64_e32 v7, v[8:9]
	v_add_co_u32 v9, vcc_lo, v10, s3
	v_add_co_ci_u32_e32 v10, vcc_lo, s2, v11, vcc_lo
	global_store_dwordx2 v[9:10], v[6:7], off
	global_load_dwordx2 v[11:12], v109, s[12:13] offset:1920
	ds_read2_b64 v[5:8], v5 offset0:112 offset1:192
	v_add_co_u32 v9, vcc_lo, v9, s3
	v_add_co_ci_u32_e32 v10, vcc_lo, s2, v10, vcc_lo
	s_waitcnt vmcnt(0) lgkmcnt(0)
	v_mul_f32_e32 v13, v6, v12
	v_mul_f32_e32 v12, v5, v12
	v_fmac_f32_e32 v13, v5, v11
	v_fma_f32 v11, v11, v6, -v12
	v_cvt_f64_f32_e32 v[5:6], v13
	v_cvt_f64_f32_e32 v[11:12], v11
	v_mul_f64 v[5:6], v[5:6], s[0:1]
	v_mul_f64 v[11:12], v[11:12], s[0:1]
	v_cvt_f32_f64_e32 v5, v[5:6]
	v_cvt_f32_f64_e32 v6, v[11:12]
	v_add_co_u32 v11, vcc_lo, 0x800, v17
	v_add_co_ci_u32_e32 v12, vcc_lo, 0, v18, vcc_lo
	global_store_dwordx2 v[9:10], v[5:6], off
	global_load_dwordx2 v[5:6], v[11:12], off offset:512
	s_waitcnt vmcnt(0)
	v_mul_f32_e32 v13, v8, v6
	v_mul_f32_e32 v6, v7, v6
	v_fmac_f32_e32 v13, v7, v5
	v_fma_f32 v7, v5, v8, -v6
	v_cvt_f64_f32_e32 v[5:6], v13
	v_cvt_f64_f32_e32 v[7:8], v7
	v_mul_f64 v[5:6], v[5:6], s[0:1]
	v_mul_f64 v[7:8], v[7:8], s[0:1]
	v_cvt_f32_f64_e32 v5, v[5:6]
	v_cvt_f32_f64_e32 v6, v[7:8]
	v_add_co_u32 v8, vcc_lo, v9, s3
	v_add_co_ci_u32_e32 v9, vcc_lo, s2, v10, vcc_lo
	global_store_dwordx2 v[8:9], v[5:6], off
	global_load_dwordx2 v[13:14], v[11:12], off offset:1152
	ds_read2_b64 v[4:7], v4 offset0:144 offset1:224
	v_add_co_u32 v8, vcc_lo, v8, s3
	v_add_co_ci_u32_e32 v9, vcc_lo, s2, v9, vcc_lo
	s_waitcnt vmcnt(0) lgkmcnt(0)
	v_mul_f32_e32 v10, v5, v14
	v_mul_f32_e32 v14, v4, v14
	v_fmac_f32_e32 v10, v4, v13
	v_fma_f32 v13, v13, v5, -v14
	v_cvt_f64_f32_e32 v[4:5], v10
	v_cvt_f64_f32_e32 v[13:14], v13
	v_mul_f64 v[4:5], v[4:5], s[0:1]
	v_mul_f64 v[13:14], v[13:14], s[0:1]
	v_cvt_f32_f64_e32 v4, v[4:5]
	v_cvt_f32_f64_e32 v5, v[13:14]
	global_store_dwordx2 v[8:9], v[4:5], off
	global_load_dwordx2 v[4:5], v[11:12], off offset:1792
	s_waitcnt vmcnt(0)
	v_mul_f32_e32 v10, v7, v5
	v_mul_f32_e32 v5, v6, v5
	v_fmac_f32_e32 v10, v6, v4
	v_fma_f32 v6, v4, v7, -v5
	v_cvt_f64_f32_e32 v[4:5], v10
	v_cvt_f64_f32_e32 v[6:7], v6
	v_mul_f64 v[4:5], v[4:5], s[0:1]
	v_mul_f64 v[6:7], v[6:7], s[0:1]
	v_cvt_f32_f64_e32 v4, v[4:5]
	v_cvt_f32_f64_e32 v5, v[6:7]
	v_add_co_u32 v7, vcc_lo, v8, s3
	v_add_co_ci_u32_e32 v8, vcc_lo, s2, v9, vcc_lo
	v_add_co_u32 v9, vcc_lo, 0x1000, v17
	v_add_co_ci_u32_e32 v10, vcc_lo, 0, v18, vcc_lo
	global_store_dwordx2 v[7:8], v[4:5], off
	global_load_dwordx2 v[11:12], v[9:10], off offset:384
	ds_read2_b64 v[3:6], v3 offset0:48 offset1:128
	v_add_co_u32 v7, vcc_lo, v7, s3
	v_add_co_ci_u32_e32 v8, vcc_lo, s2, v8, vcc_lo
	s_waitcnt vmcnt(0) lgkmcnt(0)
	v_mul_f32_e32 v13, v4, v12
	v_mul_f32_e32 v12, v3, v12
	v_fmac_f32_e32 v13, v3, v11
	v_fma_f32 v11, v11, v4, -v12
	v_cvt_f64_f32_e32 v[3:4], v13
	v_cvt_f64_f32_e32 v[11:12], v11
	v_mul_f64 v[3:4], v[3:4], s[0:1]
	v_mul_f64 v[11:12], v[11:12], s[0:1]
	v_cvt_f32_f64_e32 v3, v[3:4]
	v_cvt_f32_f64_e32 v4, v[11:12]
	v_lshlrev_b32_e32 v11, 3, v108
	global_store_dwordx2 v[7:8], v[3:4], off
	global_load_dwordx2 v[3:4], v11, s[12:13]
	s_waitcnt vmcnt(0)
	v_mul_f32_e32 v11, v6, v4
	v_mul_f32_e32 v4, v5, v4
	v_fmac_f32_e32 v11, v5, v3
	v_fma_f32 v5, v3, v6, -v4
	v_cvt_f64_f32_e32 v[3:4], v11
	v_cvt_f64_f32_e32 v[5:6], v5
	v_mad_u64_u32 v[11:12], null, s4, v108, 0
	v_mad_u64_u32 v[12:13], null, s5, v108, v[12:13]
	v_mul_f64 v[3:4], v[3:4], s[0:1]
	v_mul_f64 v[5:6], v[5:6], s[0:1]
	v_cvt_f32_f64_e32 v3, v[3:4]
	v_cvt_f32_f64_e32 v4, v[5:6]
	v_lshlrev_b64 v[5:6], 3, v[11:12]
	v_add_co_u32 v5, vcc_lo, v15, v5
	v_add_co_ci_u32_e32 v6, vcc_lo, v16, v6, vcc_lo
	global_store_dwordx2 v[5:6], v[3:4], off
	global_load_dwordx2 v[9:10], v[9:10], off offset:1664
	ds_read2_b64 v[2:5], v2 offset0:80 offset1:160
	s_waitcnt vmcnt(0) lgkmcnt(0)
	v_mul_f32_e32 v6, v3, v10
	v_mul_f32_e32 v10, v2, v10
	v_fmac_f32_e32 v6, v2, v9
	v_fma_f32 v9, v9, v3, -v10
	v_cvt_f64_f32_e32 v[2:3], v6
	v_cvt_f64_f32_e32 v[9:10], v9
	v_mad_u64_u32 v[6:7], null, 0x500, s4, v[7:8]
	v_mad_u64_u32 v[7:8], null, 0x500, s5, v[7:8]
	v_add_co_u32 v8, vcc_lo, 0x1800, v17
	v_mul_f64 v[2:3], v[2:3], s[0:1]
	v_mul_f64 v[9:10], v[9:10], s[0:1]
	v_cvt_f32_f64_e32 v2, v[2:3]
	v_cvt_f32_f64_e32 v3, v[9:10]
	v_add_co_ci_u32_e32 v9, vcc_lo, 0, v18, vcc_lo
	global_store_dwordx2 v[6:7], v[2:3], off
	global_load_dwordx2 v[2:3], v[8:9], off offset:256
	s_waitcnt vmcnt(0)
	v_mul_f32_e32 v10, v5, v3
	v_mul_f32_e32 v3, v4, v3
	v_fmac_f32_e32 v10, v4, v2
	v_fma_f32 v4, v2, v5, -v3
	v_cvt_f64_f32_e32 v[2:3], v10
	v_cvt_f64_f32_e32 v[4:5], v4
	v_mul_f64 v[2:3], v[2:3], s[0:1]
	v_mul_f64 v[4:5], v[4:5], s[0:1]
	v_cvt_f32_f64_e32 v2, v[2:3]
	v_cvt_f32_f64_e32 v3, v[4:5]
	v_add_co_u32 v5, vcc_lo, v6, s3
	v_add_co_ci_u32_e32 v6, vcc_lo, s2, v7, vcc_lo
	global_store_dwordx2 v[5:6], v[2:3], off
	global_load_dwordx2 v[10:11], v[8:9], off offset:896
	ds_read2_b64 v[1:4], v1 offset0:112 offset1:192
	v_add_co_u32 v5, vcc_lo, v5, s3
	v_add_co_ci_u32_e32 v6, vcc_lo, s2, v6, vcc_lo
	s_waitcnt vmcnt(0) lgkmcnt(0)
	v_mul_f32_e32 v7, v2, v11
	v_mul_f32_e32 v11, v1, v11
	v_fmac_f32_e32 v7, v1, v10
	v_fma_f32 v10, v10, v2, -v11
	v_cvt_f64_f32_e32 v[1:2], v7
	v_cvt_f64_f32_e32 v[10:11], v10
	v_mul_f64 v[1:2], v[1:2], s[0:1]
	v_mul_f64 v[10:11], v[10:11], s[0:1]
	v_cvt_f32_f64_e32 v1, v[1:2]
	v_cvt_f32_f64_e32 v2, v[10:11]
	global_store_dwordx2 v[5:6], v[1:2], off
	global_load_dwordx2 v[1:2], v[8:9], off offset:1536
	s_waitcnt vmcnt(0)
	v_mul_f32_e32 v7, v4, v2
	v_mul_f32_e32 v2, v3, v2
	v_fmac_f32_e32 v7, v3, v1
	v_fma_f32 v3, v1, v4, -v2
	v_cvt_f64_f32_e32 v[1:2], v7
	v_cvt_f64_f32_e32 v[3:4], v3
	v_mul_f64 v[1:2], v[1:2], s[0:1]
	v_mul_f64 v[3:4], v[3:4], s[0:1]
	v_cvt_f32_f64_e32 v1, v[1:2]
	v_cvt_f32_f64_e32 v2, v[3:4]
	v_add_co_u32 v4, vcc_lo, v5, s3
	v_add_co_ci_u32_e32 v5, vcc_lo, s2, v6, vcc_lo
	v_add_co_u32 v6, vcc_lo, 0x2000, v17
	v_add_co_ci_u32_e32 v7, vcc_lo, 0, v18, vcc_lo
	global_store_dwordx2 v[4:5], v[1:2], off
	global_load_dwordx2 v[8:9], v[6:7], off offset:128
	ds_read2_b64 v[0:3], v0 offset0:16 offset1:96
	v_add_co_u32 v4, vcc_lo, v4, s3
	v_add_co_ci_u32_e32 v5, vcc_lo, s2, v5, vcc_lo
	s_waitcnt vmcnt(0) lgkmcnt(0)
	v_mul_f32_e32 v10, v1, v9
	v_mul_f32_e32 v9, v0, v9
	v_fmac_f32_e32 v10, v0, v8
	v_fma_f32 v8, v8, v1, -v9
	v_cvt_f64_f32_e32 v[0:1], v10
	v_cvt_f64_f32_e32 v[8:9], v8
	v_mul_f64 v[0:1], v[0:1], s[0:1]
	v_mul_f64 v[8:9], v[8:9], s[0:1]
	v_cvt_f32_f64_e32 v0, v[0:1]
	v_cvt_f32_f64_e32 v1, v[8:9]
	global_store_dwordx2 v[4:5], v[0:1], off
	global_load_dwordx2 v[0:1], v[6:7], off offset:768
	v_add_co_u32 v4, vcc_lo, v4, s3
	v_add_co_ci_u32_e32 v5, vcc_lo, s2, v5, vcc_lo
	s_waitcnt vmcnt(0)
	v_mul_f32_e32 v8, v3, v1
	v_mul_f32_e32 v1, v2, v1
	v_fmac_f32_e32 v8, v2, v0
	v_fma_f32 v2, v0, v3, -v1
	v_cvt_f64_f32_e32 v[0:1], v8
	v_cvt_f64_f32_e32 v[2:3], v2
	v_mul_f64 v[0:1], v[0:1], s[0:1]
	v_mul_f64 v[2:3], v[2:3], s[0:1]
	v_cvt_f32_f64_e32 v0, v[0:1]
	v_cvt_f32_f64_e32 v1, v[2:3]
	global_store_dwordx2 v[4:5], v[0:1], off
	global_load_dwordx2 v[6:7], v[6:7], off offset:1408
	v_add_nc_u32_e32 v0, 0x2400, v113
	v_add_co_u32 v4, vcc_lo, v4, s3
	v_add_co_ci_u32_e32 v5, vcc_lo, s2, v5, vcc_lo
	ds_read2_b64 v[0:3], v0 offset0:48 offset1:128
	s_waitcnt vmcnt(0) lgkmcnt(0)
	v_mul_f32_e32 v8, v1, v7
	v_mul_f32_e32 v7, v0, v7
	v_fmac_f32_e32 v8, v0, v6
	v_fma_f32 v6, v6, v1, -v7
	v_cvt_f64_f32_e32 v[0:1], v8
	v_cvt_f64_f32_e32 v[6:7], v6
	v_mul_f64 v[0:1], v[0:1], s[0:1]
	v_mul_f64 v[6:7], v[6:7], s[0:1]
	v_cvt_f32_f64_e32 v0, v[0:1]
	v_cvt_f32_f64_e32 v1, v[6:7]
	v_lshlrev_b32_e32 v6, 3, v107
	global_store_dwordx2 v[4:5], v[0:1], off
	global_load_dwordx2 v[0:1], v6, s[12:13]
	s_waitcnt vmcnt(0)
	v_mul_f32_e32 v4, v3, v1
	v_mul_f32_e32 v1, v2, v1
	v_fmac_f32_e32 v4, v2, v0
	v_fma_f32 v2, v0, v3, -v1
	v_cvt_f64_f32_e32 v[0:1], v4
	v_cvt_f64_f32_e32 v[2:3], v2
	v_mad_u64_u32 v[4:5], null, s4, v107, 0
	v_mad_u64_u32 v[5:6], null, s5, v107, v[5:6]
	v_mul_f64 v[0:1], v[0:1], s[0:1]
	v_mul_f64 v[2:3], v[2:3], s[0:1]
	v_cvt_f32_f64_e32 v0, v[0:1]
	v_cvt_f32_f64_e32 v1, v[2:3]
	v_lshlrev_b64 v[2:3], 3, v[4:5]
	v_add_co_u32 v2, vcc_lo, v15, v2
	v_add_co_ci_u32_e32 v3, vcc_lo, v16, v3, vcc_lo
	global_store_dwordx2 v[2:3], v[0:1], off
.LBB0_23:
	s_endpgm
	.section	.rodata,"a",@progbits
	.p2align	6, 0x0
	.amdhsa_kernel bluestein_single_fwd_len1360_dim1_sp_op_CI_CI
		.amdhsa_group_segment_fixed_size 32640
		.amdhsa_private_segment_fixed_size 8
		.amdhsa_kernarg_size 104
		.amdhsa_user_sgpr_count 6
		.amdhsa_user_sgpr_private_segment_buffer 1
		.amdhsa_user_sgpr_dispatch_ptr 0
		.amdhsa_user_sgpr_queue_ptr 0
		.amdhsa_user_sgpr_kernarg_segment_ptr 1
		.amdhsa_user_sgpr_dispatch_id 0
		.amdhsa_user_sgpr_flat_scratch_init 0
		.amdhsa_user_sgpr_private_segment_size 0
		.amdhsa_wavefront_size32 1
		.amdhsa_uses_dynamic_stack 0
		.amdhsa_system_sgpr_private_segment_wavefront_offset 1
		.amdhsa_system_sgpr_workgroup_id_x 1
		.amdhsa_system_sgpr_workgroup_id_y 0
		.amdhsa_system_sgpr_workgroup_id_z 0
		.amdhsa_system_sgpr_workgroup_info 0
		.amdhsa_system_vgpr_workitem_id 0
		.amdhsa_next_free_vgpr 256
		.amdhsa_next_free_sgpr 20
		.amdhsa_reserve_vcc 1
		.amdhsa_reserve_flat_scratch 0
		.amdhsa_float_round_mode_32 0
		.amdhsa_float_round_mode_16_64 0
		.amdhsa_float_denorm_mode_32 3
		.amdhsa_float_denorm_mode_16_64 3
		.amdhsa_dx10_clamp 1
		.amdhsa_ieee_mode 1
		.amdhsa_fp16_overflow 0
		.amdhsa_workgroup_processor_mode 1
		.amdhsa_memory_ordered 1
		.amdhsa_forward_progress 0
		.amdhsa_shared_vgpr_count 0
		.amdhsa_exception_fp_ieee_invalid_op 0
		.amdhsa_exception_fp_denorm_src 0
		.amdhsa_exception_fp_ieee_div_zero 0
		.amdhsa_exception_fp_ieee_overflow 0
		.amdhsa_exception_fp_ieee_underflow 0
		.amdhsa_exception_fp_ieee_inexact 0
		.amdhsa_exception_int_div_zero 0
	.end_amdhsa_kernel
	.text
.Lfunc_end0:
	.size	bluestein_single_fwd_len1360_dim1_sp_op_CI_CI, .Lfunc_end0-bluestein_single_fwd_len1360_dim1_sp_op_CI_CI
                                        ; -- End function
	.section	.AMDGPU.csdata,"",@progbits
; Kernel info:
; codeLenInByte = 22268
; NumSgprs: 22
; NumVgprs: 256
; ScratchSize: 8
; MemoryBound: 0
; FloatMode: 240
; IeeeMode: 1
; LDSByteSize: 32640 bytes/workgroup (compile time only)
; SGPRBlocks: 2
; VGPRBlocks: 31
; NumSGPRsForWavesPerEU: 22
; NumVGPRsForWavesPerEU: 256
; Occupancy: 4
; WaveLimiterHint : 1
; COMPUTE_PGM_RSRC2:SCRATCH_EN: 1
; COMPUTE_PGM_RSRC2:USER_SGPR: 6
; COMPUTE_PGM_RSRC2:TRAP_HANDLER: 0
; COMPUTE_PGM_RSRC2:TGID_X_EN: 1
; COMPUTE_PGM_RSRC2:TGID_Y_EN: 0
; COMPUTE_PGM_RSRC2:TGID_Z_EN: 0
; COMPUTE_PGM_RSRC2:TIDIG_COMP_CNT: 0
	.text
	.p2alignl 6, 3214868480
	.fill 48, 4, 3214868480
	.type	__hip_cuid_1396d984a8211566,@object ; @__hip_cuid_1396d984a8211566
	.section	.bss,"aw",@nobits
	.globl	__hip_cuid_1396d984a8211566
__hip_cuid_1396d984a8211566:
	.byte	0                               ; 0x0
	.size	__hip_cuid_1396d984a8211566, 1

	.ident	"AMD clang version 19.0.0git (https://github.com/RadeonOpenCompute/llvm-project roc-6.4.0 25133 c7fe45cf4b819c5991fe208aaa96edf142730f1d)"
	.section	".note.GNU-stack","",@progbits
	.addrsig
	.addrsig_sym __hip_cuid_1396d984a8211566
	.amdgpu_metadata
---
amdhsa.kernels:
  - .args:
      - .actual_access:  read_only
        .address_space:  global
        .offset:         0
        .size:           8
        .value_kind:     global_buffer
      - .actual_access:  read_only
        .address_space:  global
        .offset:         8
        .size:           8
        .value_kind:     global_buffer
      - .actual_access:  read_only
        .address_space:  global
        .offset:         16
        .size:           8
        .value_kind:     global_buffer
      - .actual_access:  read_only
        .address_space:  global
        .offset:         24
        .size:           8
        .value_kind:     global_buffer
      - .actual_access:  read_only
        .address_space:  global
        .offset:         32
        .size:           8
        .value_kind:     global_buffer
      - .offset:         40
        .size:           8
        .value_kind:     by_value
      - .address_space:  global
        .offset:         48
        .size:           8
        .value_kind:     global_buffer
      - .address_space:  global
        .offset:         56
        .size:           8
        .value_kind:     global_buffer
      - .address_space:  global
        .offset:         64
        .size:           8
        .value_kind:     global_buffer
      - .address_space:  global
        .offset:         72
        .size:           8
        .value_kind:     global_buffer
      - .offset:         80
        .size:           4
        .value_kind:     by_value
      - .address_space:  global
        .offset:         88
        .size:           8
        .value_kind:     global_buffer
      - .address_space:  global
        .offset:         96
        .size:           8
        .value_kind:     global_buffer
    .group_segment_fixed_size: 32640
    .kernarg_segment_align: 8
    .kernarg_segment_size: 104
    .language:       OpenCL C
    .language_version:
      - 2
      - 0
    .max_flat_workgroup_size: 255
    .name:           bluestein_single_fwd_len1360_dim1_sp_op_CI_CI
    .private_segment_fixed_size: 8
    .sgpr_count:     22
    .sgpr_spill_count: 0
    .symbol:         bluestein_single_fwd_len1360_dim1_sp_op_CI_CI.kd
    .uniform_work_group_size: 1
    .uses_dynamic_stack: false
    .vgpr_count:     256
    .vgpr_spill_count: 1
    .wavefront_size: 32
    .workgroup_processor_mode: 1
amdhsa.target:   amdgcn-amd-amdhsa--gfx1030
amdhsa.version:
  - 1
  - 2
...

	.end_amdgpu_metadata
